;; amdgpu-corpus repo=pytorch/pytorch kind=compiled arch=gfx906 opt=O3
	.amdgcn_target "amdgcn-amd-amdhsa--gfx906"
	.amdhsa_code_object_version 6
	.section	.text._ZN2at6native12_GLOBAL__N_128conv_depthwise3d_cuda_kernelIddLi3ELi3ELi3ELi1ELi1ELi1EEEvN5torch10headeronly6detail27GenericPackedTensorAccessorINS5_14TensorAccessorIN3c108ArrayRefIlEEKT_Lm4ENS4_16DefaultPtrTraitsEiEENS_6detail16IndexBoundsCheckILm5EiEESC_Lm5ESD_iEENS6_INS7_ISA_SB_Lm4ESD_iEESH_SB_Lm5ESD_iEESI_PSC_iiiiiiiii,"axG",@progbits,_ZN2at6native12_GLOBAL__N_128conv_depthwise3d_cuda_kernelIddLi3ELi3ELi3ELi1ELi1ELi1EEEvN5torch10headeronly6detail27GenericPackedTensorAccessorINS5_14TensorAccessorIN3c108ArrayRefIlEEKT_Lm4ENS4_16DefaultPtrTraitsEiEENS_6detail16IndexBoundsCheckILm5EiEESC_Lm5ESD_iEENS6_INS7_ISA_SB_Lm4ESD_iEESH_SB_Lm5ESD_iEESI_PSC_iiiiiiiii,comdat
	.globl	_ZN2at6native12_GLOBAL__N_128conv_depthwise3d_cuda_kernelIddLi3ELi3ELi3ELi1ELi1ELi1EEEvN5torch10headeronly6detail27GenericPackedTensorAccessorINS5_14TensorAccessorIN3c108ArrayRefIlEEKT_Lm4ENS4_16DefaultPtrTraitsEiEENS_6detail16IndexBoundsCheckILm5EiEESC_Lm5ESD_iEENS6_INS7_ISA_SB_Lm4ESD_iEESH_SB_Lm5ESD_iEESI_PSC_iiiiiiiii ; -- Begin function _ZN2at6native12_GLOBAL__N_128conv_depthwise3d_cuda_kernelIddLi3ELi3ELi3ELi1ELi1ELi1EEEvN5torch10headeronly6detail27GenericPackedTensorAccessorINS5_14TensorAccessorIN3c108ArrayRefIlEEKT_Lm4ENS4_16DefaultPtrTraitsEiEENS_6detail16IndexBoundsCheckILm5EiEESC_Lm5ESD_iEENS6_INS7_ISA_SB_Lm4ESD_iEESH_SB_Lm5ESD_iEESI_PSC_iiiiiiiii
	.p2align	8
	.type	_ZN2at6native12_GLOBAL__N_128conv_depthwise3d_cuda_kernelIddLi3ELi3ELi3ELi1ELi1ELi1EEEvN5torch10headeronly6detail27GenericPackedTensorAccessorINS5_14TensorAccessorIN3c108ArrayRefIlEEKT_Lm4ENS4_16DefaultPtrTraitsEiEENS_6detail16IndexBoundsCheckILm5EiEESC_Lm5ESD_iEENS6_INS7_ISA_SB_Lm4ESD_iEESH_SB_Lm5ESD_iEESI_PSC_iiiiiiiii,@function
_ZN2at6native12_GLOBAL__N_128conv_depthwise3d_cuda_kernelIddLi3ELi3ELi3ELi1ELi1ELi1EEEvN5torch10headeronly6detail27GenericPackedTensorAccessorINS5_14TensorAccessorIN3c108ArrayRefIlEEKT_Lm4ENS4_16DefaultPtrTraitsEiEENS_6detail16IndexBoundsCheckILm5EiEESC_Lm5ESD_iEENS6_INS7_ISA_SB_Lm4ESD_iEESH_SB_Lm5ESD_iEESI_PSC_iiiiiiiii: ; @_ZN2at6native12_GLOBAL__N_128conv_depthwise3d_cuda_kernelIddLi3ELi3ELi3ELi1ELi1ELi1EEEvN5torch10headeronly6detail27GenericPackedTensorAccessorINS5_14TensorAccessorIN3c108ArrayRefIlEEKT_Lm4ENS4_16DefaultPtrTraitsEiEENS_6detail16IndexBoundsCheckILm5EiEESC_Lm5ESD_iEENS6_INS7_ISA_SB_Lm4ESD_iEESH_SB_Lm5ESD_iEESI_PSC_iiiiiiiii
; %bb.0:
	s_load_dwordx4 s[28:31], s[4:5], 0xc
	s_load_dwordx4 s[36:39], s[4:5], 0x38
	s_load_dwordx2 s[34:35], s[4:5], 0x48
	s_load_dword s2, s[4:5], 0xcc
	v_mov_b32_e32 v9, 0
	s_waitcnt lgkmcnt(0)
	s_abs_i32 s3, s28
	v_cvt_f32_u32_e32 v1, s3
	s_add_u32 s0, s4, 0xc0
	s_addc_u32 s1, s5, 0
	s_and_b32 s2, s2, 0xffff
	v_rcp_iflag_f32_e32 v1, v1
	s_mul_i32 s52, s35, s36
	s_mul_hi_u32 s33, s2, s6
	s_mul_i32 s36, s2, s6
	v_mul_f32_e32 v1, 0x4f7ffffe, v1
	v_cvt_u32_f32_e32 v1, v1
	v_mov_b32_e32 v2, s33
	s_ashr_i32 s53, s52, 31
	v_readfirstlane_b32 s6, v1
	v_add_co_u32_e32 v1, vcc, s36, v0
	v_addc_co_u32_e32 v2, vcc, 0, v2, vcc
	v_cmp_gt_i64_e32 vcc, s[52:53], v[1:2]
	s_and_saveexec_b64 s[8:9], vcc
	s_cbranch_execz .LBB0_59
; %bb.1:
	s_sub_i32 s8, 0, s3
	s_mul_i32 s8, s8, s6
	s_mul_hi_u32 s8, s6, s8
	s_ashr_i32 s7, s28, 31
	s_abs_i32 s28, s37
	s_add_i32 s6, s6, s8
	s_mul_hi_u32 s6, s28, s6
	s_mul_i32 s8, s6, s3
	s_ashr_i32 s74, s37, 31
	s_sub_i32 s8, s28, s8
	s_xor_b32 s7, s74, s7
	s_add_i32 s9, s6, 1
	s_sub_i32 s10, s8, s3
	s_cmp_ge_u32 s8, s3
	s_cselect_b32 s6, s9, s6
	s_cselect_b32 s8, s10, s8
	s_add_i32 s9, s6, 1
	s_cmp_ge_u32 s8, s3
	s_cselect_b32 s3, s9, s6
	s_add_i32 s6, s30, -3
	s_xor_b32 s3, s3, s7
	s_mul_i32 s6, s31, s6
	s_load_dwordx4 s[40:43], s[4:5], 0x98
	s_load_dwordx2 s[54:55], s[4:5], 0xa8
	s_sub_i32 s3, s3, s7
	s_load_dword s8, s[0:1], 0x0
	s_load_dwordx2 s[56:57], s[4:5], 0x90
	s_load_dword s75, s[4:5], 0x7c
	s_load_dwordx2 s[58:59], s[4:5], 0x0
	s_load_dwordx4 s[44:47], s[4:5], 0x1c
	s_load_dword s76, s[4:5], 0x2c
	s_load_dwordx2 s[60:61], s[4:5], 0x30
	s_ashr_i32 s1, s31, 31
	s_ashr_i32 s7, s6, 31
	s_waitcnt lgkmcnt(0)
	s_cmp_lg_u64 s[56:57], 0
	s_cselect_b64 s[62:63], -1, 0
	s_abs_i32 s77, s34
	v_cvt_f32_u32_e32 v1, s77
	s_abs_i32 s78, s39
	v_cvt_f32_u32_e32 v2, s78
	s_mul_i32 s79, s8, s2
	v_rcp_iflag_f32_e32 v1, v1
	s_sub_i32 s2, 0, s77
	v_rcp_iflag_f32_e32 v2, v2
	s_abs_i32 s80, s38
	v_mul_f32_e32 v1, 0x4f7ffffe, v1
	v_cvt_u32_f32_e32 v1, v1
	v_mul_f32_e32 v2, 0x4f7ffffe, v2
	v_cvt_u32_f32_e32 v2, v2
	v_cvt_f32_u32_e32 v5, s80
	v_mul_lo_u32 v3, s2, v1
	s_sub_i32 s2, 0, s78
	v_mul_lo_u32 v4, s2, v2
	s_abs_i32 s83, s3
	v_mul_hi_u32 v3, v1, v3
	v_rcp_iflag_f32_e32 v5, v5
	v_mul_hi_u32 v4, v2, v4
	s_sub_i32 s2, 0, s80
	v_add_u32_e32 v10, v1, v3
	v_cvt_f32_u32_e32 v3, s83
	v_add_u32_e32 v11, v2, v4
	v_cvt_f32_u32_e32 v2, s28
	v_mul_f32_e32 v1, 0x4f7ffffe, v5
	v_rcp_iflag_f32_e32 v3, v3
	v_cvt_u32_f32_e32 v1, v1
	v_rcp_iflag_f32_e32 v2, v2
	s_load_dwordx2 s[66:67], s[4:5], 0x60
	s_load_dwordx4 s[48:51], s[4:5], 0x50
	v_mul_f32_e32 v3, 0x4f7ffffe, v3
	v_cvt_u32_f32_e32 v3, v3
	v_mul_f32_e32 v2, 0x4f7ffffe, v2
	v_cvt_u32_f32_e32 v2, v2
	v_mul_lo_u32 v4, s2, v1
	s_sub_i32 s2, 0, s28
	s_mov_b32 s0, s31
	v_mul_lo_u32 v5, s2, v2
	s_sub_i32 s2, 0, s83
	v_mul_lo_u32 v6, s2, v3
	v_mul_hi_u32 v4, v1, v4
	v_mul_hi_u32 v5, v2, v5
	s_mov_b64 s[64:65], 0
	v_mul_hi_u32 v6, v3, v6
	s_ashr_i32 s81, s34, 31
	s_ashr_i32 s82, s39, 31
	;; [unrolled: 1-line block ×3, first 2 shown]
	v_add_u32_e32 v12, v1, v4
	v_add_u32_e32 v13, v2, v5
	s_ashr_i32 s85, s3, 31
	v_add_u32_e32 v14, v3, v6
	s_waitcnt lgkmcnt(0)
	v_mov_b32_e32 v15, s67
	v_mov_b32_e32 v16, s59
	s_lshl_b64 s[68:69], s[0:1], 3
	s_lshl_b64 s[70:71], s[6:7], 3
	s_branch .LBB0_3
.LBB0_2:                                ;   in Loop: Header=BB0_3 Depth=1
	v_mul_lo_u32 v5, v20, s35
	v_mul_lo_u32 v1, s48, v1
	v_mov_b32_e32 v2, s61
	v_ashrrev_i32_e32 v6, 31, v5
	v_lshlrev_b64 v[5:6], 3, v[5:6]
	v_add_co_u32_e32 v7, vcc, s60, v5
	v_addc_co_u32_e32 v6, vcc, v2, v6, vcc
	v_ashrrev_i32_e32 v2, 31, v1
	v_mul_lo_u32 v5, s49, v19
	v_lshlrev_b64 v[1:2], 3, v[1:2]
	v_add_co_u32_e32 v7, vcc, v7, v1
	v_addc_co_u32_e32 v8, vcc, v6, v2, vcc
	v_ashrrev_i32_e32 v6, 31, v5
	v_lshlrev_b64 v[1:2], 3, v[5:6]
	v_mul_lo_u32 v5, s50, v18
	v_add_co_u32_e32 v7, vcc, v7, v1
	v_addc_co_u32_e32 v8, vcc, v8, v2, vcc
	v_ashrrev_i32_e32 v6, 31, v5
	v_lshlrev_b64 v[1:2], 3, v[5:6]
	v_mul_lo_u32 v5, s51, v17
	v_add_co_u32_e32 v7, vcc, v7, v1
	v_addc_co_u32_e32 v8, vcc, v8, v2, vcc
	v_add_co_u32_e32 v0, vcc, s79, v0
	v_ashrrev_i32_e32 v6, 31, v5
	v_addc_co_u32_e32 v9, vcc, 0, v9, vcc
	v_lshlrev_b64 v[1:2], 3, v[5:6]
	v_mov_b32_e32 v6, s33
	v_add_co_u32_e32 v5, vcc, s36, v0
	v_addc_co_u32_e32 v6, vcc, v6, v9, vcc
	v_cmp_le_i64_e32 vcc, s[52:53], v[5:6]
	v_add_co_u32_e64 v1, s[0:1], v7, v1
	v_addc_co_u32_e64 v2, s[0:1], v8, v2, s[0:1]
	s_or_b64 s[64:65], vcc, s[64:65]
	global_store_dwordx2 v[1:2], v[3:4], off
	s_andn2_b64 exec, exec, s[64:65]
	s_cbranch_execz .LBB0_59
.LBB0_3:                                ; =>This Inner Loop Header: Depth=1
	v_add_u32_e32 v2, s36, v0
	v_sub_u32_e32 v1, 0, v2
	v_max_i32_e32 v1, v2, v1
	v_mul_hi_u32 v3, v1, v10
	v_ashrrev_i32_e32 v5, 31, v2
	v_xor_b32_e32 v5, s81, v5
	v_mul_lo_u32 v4, v3, s77
	v_add_u32_e32 v6, 1, v3
	v_sub_u32_e32 v1, v1, v4
	v_cmp_le_u32_e32 vcc, s77, v1
	v_subrev_u32_e32 v4, s77, v1
	v_cndmask_b32_e32 v3, v3, v6, vcc
	v_cndmask_b32_e32 v1, v1, v4, vcc
	v_add_u32_e32 v4, 1, v3
	v_cmp_le_u32_e32 vcc, s77, v1
	v_cndmask_b32_e32 v1, v3, v4, vcc
	v_xor_b32_e32 v1, v1, v5
	v_sub_u32_e32 v3, v1, v5
	v_sub_u32_e32 v1, 0, v3
	v_max_i32_e32 v1, v3, v1
	v_mul_hi_u32 v4, v1, v11
	v_ashrrev_i32_e32 v6, 31, v3
	v_xor_b32_e32 v6, s82, v6
	v_mul_lo_u32 v5, v4, s78
	v_add_u32_e32 v7, 1, v4
	v_sub_u32_e32 v1, v1, v5
	v_cmp_le_u32_e32 vcc, s78, v1
	v_subrev_u32_e32 v5, s78, v1
	v_cndmask_b32_e32 v4, v4, v7, vcc
	v_cndmask_b32_e32 v1, v1, v5, vcc
	v_add_u32_e32 v5, 1, v4
	v_cmp_le_u32_e32 vcc, s78, v1
	v_cndmask_b32_e32 v1, v4, v5, vcc
	v_xor_b32_e32 v1, v1, v6
	v_sub_u32_e32 v4, v1, v6
	;; [unrolled: 17-line block ×4, first 2 shown]
	v_mul_lo_u32 v1, v20, s37
	v_mul_lo_u32 v7, v4, s39
	;; [unrolled: 1-line block ×3, first 2 shown]
	v_sub_u32_e32 v1, v5, v1
	v_sub_u32_e32 v8, 0, v1
	v_max_i32_e32 v8, v1, v8
	v_mul_hi_u32 v21, v8, v14
	v_sub_u32_e32 v18, v3, v7
	v_mul_lo_u32 v5, v5, s38
	v_sub_u32_e32 v17, v2, v6
	v_mul_lo_u32 v3, v21, s83
	v_ashrrev_i32_e32 v2, 31, v1
	v_sub_u32_e32 v19, v4, v5
	v_add_u32_e32 v5, 1, v21
	v_sub_u32_e32 v3, v8, v3
	v_cmp_le_u32_e32 vcc, s83, v3
	v_subrev_u32_e32 v6, s83, v3
	v_cndmask_b32_e32 v5, v21, v5, vcc
	v_cndmask_b32_e32 v3, v3, v6, vcc
	v_add_u32_e32 v6, 1, v5
	v_cmp_le_u32_e32 vcc, s83, v3
	v_xor_b32_e32 v4, s85, v2
	v_cndmask_b32_e32 v5, v5, v6, vcc
	v_mul_lo_u32 v3, s44, v20
	v_xor_b32_e32 v5, v5, v4
	v_sub_u32_e32 v5, v5, v4
	v_mul_lo_u32 v6, v19, s40
	v_mul_lo_u32 v5, s45, v5
	v_ashrrev_i32_e32 v4, 31, v3
	v_lshlrev_b64 v[3:4], 3, v[3:4]
	v_subrev_u32_e32 v21, s43, v6
	v_add_co_u32_e32 v7, vcc, s58, v3
	v_ashrrev_i32_e32 v6, 31, v5
	v_addc_co_u32_e32 v8, vcc, v16, v4, vcc
	v_mul_lo_u32 v22, v18, s41
	v_lshlrev_b64 v[3:4], 3, v[5:6]
	v_mul_lo_u32 v5, s46, v21
	v_add_co_u32_e32 v7, vcc, v7, v3
	v_subrev_u32_e32 v22, s54, v22
	v_ashrrev_i32_e32 v6, 31, v5
	v_addc_co_u32_e32 v8, vcc, v8, v4, vcc
	v_lshlrev_b64 v[3:4], 3, v[5:6]
	v_mul_lo_u32 v5, s47, v22
	v_mul_lo_u32 v23, v17, s42
	v_add_co_u32_e32 v7, vcc, v7, v3
	v_ashrrev_i32_e32 v6, 31, v5
	v_subrev_u32_e32 v23, s55, v23
	v_addc_co_u32_e32 v8, vcc, v8, v4, vcc
	v_lshlrev_b64 v[3:4], 3, v[5:6]
	v_mul_lo_u32 v5, s76, v23
	v_add_co_u32_e32 v7, vcc, v7, v3
	v_addc_co_u32_e32 v8, vcc, v8, v4, vcc
	v_ashrrev_i32_e32 v6, 31, v5
	v_lshlrev_b64 v[3:4], 3, v[5:6]
	v_mul_lo_u32 v5, s75, v1
	v_add_co_u32_e32 v7, vcc, v7, v3
	v_addc_co_u32_e32 v8, vcc, v8, v4, vcc
	v_ashrrev_i32_e32 v6, 31, v5
	v_lshlrev_b64 v[3:4], 3, v[5:6]
	v_cmp_gt_i32_e64 s[22:23], s29, v21
	v_add_co_u32_e32 v5, vcc, s66, v3
	v_or_b32_e32 v3, v21, v22
	v_cmp_lt_i32_e64 s[8:9], -1, v3
	v_or_b32_e32 v3, v3, v23
	v_cmp_lt_i32_e64 s[0:1], -1, v3
	v_cmp_gt_i32_e64 s[10:11], s30, v22
	s_and_b64 s[0:1], s[0:1], s[22:23]
	v_addc_co_u32_e32 v6, vcc, v15, v4, vcc
	s_and_b64 s[2:3], s[0:1], s[10:11]
	v_cmp_gt_i32_e64 s[0:1], s31, v23
	v_mov_b32_e32 v3, 0
	v_cmp_lt_i32_e64 s[14:15], -1, v21
	v_cmp_lt_i32_e64 s[16:17], -1, v22
	v_cmp_lt_i32_e32 vcc, -1, v23
	v_mov_b32_e32 v4, 0
	s_and_b64 s[4:5], s[2:3], s[0:1]
	s_and_saveexec_b64 s[2:3], s[4:5]
	s_cbranch_execz .LBB0_5
; %bb.4:                                ;   in Loop: Header=BB0_3 Depth=1
	global_load_dwordx2 v[3:4], v[5:6], off
	global_load_dwordx2 v[24:25], v[7:8], off
	s_waitcnt vmcnt(0)
	v_fma_f64 v[3:4], v[3:4], v[24:25], 0
.LBB0_5:                                ;   in Loop: Header=BB0_3 Depth=1
	s_or_b64 exec, exec, s[2:3]
	v_cmp_lt_i32_e64 s[2:3], -2, v23
	s_and_b64 s[4:5], s[8:9], s[2:3]
	v_add_u32_e32 v24, 1, v23
	s_and_b64 s[4:5], s[4:5], s[22:23]
	s_and_b64 s[6:7], s[4:5], s[10:11]
	v_cmp_gt_i32_e64 s[4:5], s31, v24
	s_and_b64 s[12:13], s[6:7], s[4:5]
	s_and_saveexec_b64 s[6:7], s[12:13]
	s_cbranch_execz .LBB0_7
; %bb.6:                                ;   in Loop: Header=BB0_3 Depth=1
	global_load_dwordx2 v[24:25], v[5:6], off offset:8
	global_load_dwordx2 v[26:27], v[7:8], off offset:8
	s_waitcnt vmcnt(0)
	v_fma_f64 v[3:4], v[24:25], v[26:27], v[3:4]
.LBB0_7:                                ;   in Loop: Header=BB0_3 Depth=1
	s_or_b64 exec, exec, s[6:7]
	v_cmp_lt_i32_e64 s[6:7], -3, v23
	s_and_b64 s[8:9], s[8:9], s[6:7]
	v_add_u32_e32 v24, 2, v23
	s_and_b64 s[8:9], s[8:9], s[22:23]
	s_and_b64 s[12:13], s[8:9], s[10:11]
	v_cmp_gt_i32_e64 s[8:9], s31, v24
	s_and_b64 s[18:19], s[12:13], s[8:9]
	s_and_saveexec_b64 s[12:13], s[18:19]
	s_cbranch_execz .LBB0_9
; %bb.8:                                ;   in Loop: Header=BB0_3 Depth=1
	global_load_dwordx2 v[23:24], v[5:6], off offset:16
	global_load_dwordx2 v[25:26], v[7:8], off offset:16
	s_waitcnt vmcnt(0)
	v_fma_f64 v[3:4], v[23:24], v[25:26], v[3:4]
.LBB0_9:                                ;   in Loop: Header=BB0_3 Depth=1
	s_or_b64 exec, exec, s[12:13]
	v_cmp_lt_i32_e64 s[18:19], -2, v22
	v_mov_b32_e32 v23, s69
	v_add_co_u32_e64 v7, s[12:13], s68, v7
	s_and_b64 s[20:21], s[14:15], s[18:19]
	v_addc_co_u32_e64 v8, s[12:13], v8, v23, s[12:13]
	v_add_u32_e32 v23, 1, v22
	s_and_b64 s[24:25], s[20:21], vcc
	v_cmp_gt_i32_e64 s[12:13], s30, v23
	s_and_b64 s[24:25], s[24:25], s[22:23]
	s_and_b64 s[24:25], s[24:25], s[12:13]
	s_and_b64 s[26:27], s[24:25], s[0:1]
	s_and_saveexec_b64 s[24:25], s[26:27]
	s_cbranch_execz .LBB0_11
; %bb.10:                               ;   in Loop: Header=BB0_3 Depth=1
	global_load_dwordx2 v[23:24], v[5:6], off offset:24
	global_load_dwordx2 v[25:26], v[7:8], off
	s_waitcnt vmcnt(0)
	v_fma_f64 v[3:4], v[23:24], v[25:26], v[3:4]
.LBB0_11:                               ;   in Loop: Header=BB0_3 Depth=1
	s_or_b64 exec, exec, s[24:25]
	s_and_b64 s[24:25], s[20:21], s[2:3]
	s_and_b64 s[24:25], s[24:25], s[22:23]
	;; [unrolled: 1-line block ×4, first 2 shown]
	s_and_saveexec_b64 s[24:25], s[26:27]
	s_cbranch_execz .LBB0_13
; %bb.12:                               ;   in Loop: Header=BB0_3 Depth=1
	global_load_dwordx2 v[23:24], v[5:6], off offset:32
	global_load_dwordx2 v[25:26], v[7:8], off offset:8
	s_waitcnt vmcnt(0)
	v_fma_f64 v[3:4], v[23:24], v[25:26], v[3:4]
.LBB0_13:                               ;   in Loop: Header=BB0_3 Depth=1
	s_or_b64 exec, exec, s[24:25]
	s_and_b64 s[20:21], s[20:21], s[6:7]
	s_and_b64 s[20:21], s[20:21], s[22:23]
	;; [unrolled: 1-line block ×4, first 2 shown]
	s_and_saveexec_b64 s[20:21], s[24:25]
	s_cbranch_execz .LBB0_15
; %bb.14:                               ;   in Loop: Header=BB0_3 Depth=1
	global_load_dwordx2 v[23:24], v[5:6], off offset:40
	global_load_dwordx2 v[25:26], v[7:8], off offset:16
	s_waitcnt vmcnt(0)
	v_fma_f64 v[3:4], v[23:24], v[25:26], v[3:4]
.LBB0_15:                               ;   in Loop: Header=BB0_3 Depth=1
	s_or_b64 exec, exec, s[20:21]
	v_mov_b32_e32 v23, s69
	v_add_co_u32_e64 v7, s[20:21], s68, v7
	v_addc_co_u32_e64 v8, s[20:21], v8, v23, s[20:21]
	v_cmp_lt_i32_e64 s[20:21], -3, v22
	s_and_b64 s[24:25], s[14:15], s[20:21]
	v_add_u32_e32 v23, 2, v22
	s_and_b64 s[26:27], s[24:25], vcc
	v_cmp_gt_i32_e64 s[14:15], s30, v23
	s_and_b64 s[26:27], s[26:27], s[22:23]
	s_and_b64 s[26:27], s[26:27], s[14:15]
	;; [unrolled: 1-line block ×3, first 2 shown]
	s_and_saveexec_b64 s[26:27], s[72:73]
	s_cbranch_execz .LBB0_17
; %bb.16:                               ;   in Loop: Header=BB0_3 Depth=1
	global_load_dwordx2 v[22:23], v[5:6], off offset:48
	global_load_dwordx2 v[24:25], v[7:8], off
	s_waitcnt vmcnt(0)
	v_fma_f64 v[3:4], v[22:23], v[24:25], v[3:4]
.LBB0_17:                               ;   in Loop: Header=BB0_3 Depth=1
	s_or_b64 exec, exec, s[26:27]
	s_and_b64 s[26:27], s[24:25], s[2:3]
	s_and_b64 s[26:27], s[26:27], s[22:23]
	;; [unrolled: 1-line block ×4, first 2 shown]
	s_and_saveexec_b64 s[26:27], s[72:73]
	s_cbranch_execz .LBB0_19
; %bb.18:                               ;   in Loop: Header=BB0_3 Depth=1
	global_load_dwordx2 v[22:23], v[5:6], off offset:56
	global_load_dwordx2 v[24:25], v[7:8], off offset:8
	s_waitcnt vmcnt(0)
	v_fma_f64 v[3:4], v[22:23], v[24:25], v[3:4]
.LBB0_19:                               ;   in Loop: Header=BB0_3 Depth=1
	s_or_b64 exec, exec, s[26:27]
	s_and_b64 s[24:25], s[24:25], s[6:7]
	s_and_b64 s[22:23], s[24:25], s[22:23]
	;; [unrolled: 1-line block ×4, first 2 shown]
	s_and_saveexec_b64 s[22:23], s[24:25]
	s_cbranch_execz .LBB0_21
; %bb.20:                               ;   in Loop: Header=BB0_3 Depth=1
	global_load_dwordx2 v[22:23], v[5:6], off offset:64
	global_load_dwordx2 v[24:25], v[7:8], off offset:16
	s_waitcnt vmcnt(0)
	v_fma_f64 v[3:4], v[22:23], v[24:25], v[3:4]
.LBB0_21:                               ;   in Loop: Header=BB0_3 Depth=1
	s_or_b64 exec, exec, s[22:23]
	v_mov_b32_e32 v22, s69
	v_add_co_u32_e64 v7, s[22:23], s68, v7
	v_addc_co_u32_e64 v8, s[22:23], v8, v22, s[22:23]
	v_mov_b32_e32 v22, s71
	v_add_co_u32_e64 v7, s[22:23], s70, v7
	v_cmp_lt_i32_e64 s[24:25], -2, v21
	v_addc_co_u32_e64 v8, s[22:23], v8, v22, s[22:23]
	v_add_u32_e32 v22, 1, v21
	s_and_b64 s[26:27], s[24:25], s[16:17]
	v_cmp_gt_i32_e64 s[22:23], s29, v22
	s_and_b64 s[72:73], s[26:27], vcc
	s_and_b64 s[72:73], s[72:73], s[22:23]
	s_and_b64 s[72:73], s[72:73], s[10:11]
	;; [unrolled: 1-line block ×3, first 2 shown]
	s_and_saveexec_b64 s[72:73], s[86:87]
	s_cbranch_execz .LBB0_23
; %bb.22:                               ;   in Loop: Header=BB0_3 Depth=1
	global_load_dwordx2 v[22:23], v[5:6], off offset:72
	global_load_dwordx2 v[24:25], v[7:8], off
	s_waitcnt vmcnt(0)
	v_fma_f64 v[3:4], v[22:23], v[24:25], v[3:4]
.LBB0_23:                               ;   in Loop: Header=BB0_3 Depth=1
	s_or_b64 exec, exec, s[72:73]
	s_and_b64 s[72:73], s[26:27], s[2:3]
	s_and_b64 s[72:73], s[72:73], s[22:23]
	;; [unrolled: 1-line block ×4, first 2 shown]
	s_and_saveexec_b64 s[72:73], s[86:87]
	s_cbranch_execz .LBB0_25
; %bb.24:                               ;   in Loop: Header=BB0_3 Depth=1
	global_load_dwordx2 v[22:23], v[5:6], off offset:80
	global_load_dwordx2 v[24:25], v[7:8], off offset:8
	s_waitcnt vmcnt(0)
	v_fma_f64 v[3:4], v[22:23], v[24:25], v[3:4]
.LBB0_25:                               ;   in Loop: Header=BB0_3 Depth=1
	s_or_b64 exec, exec, s[72:73]
	s_and_b64 s[26:27], s[26:27], s[6:7]
	s_and_b64 s[26:27], s[26:27], s[22:23]
	;; [unrolled: 1-line block ×4, first 2 shown]
	s_and_saveexec_b64 s[26:27], s[72:73]
	s_cbranch_execz .LBB0_27
; %bb.26:                               ;   in Loop: Header=BB0_3 Depth=1
	global_load_dwordx2 v[22:23], v[5:6], off offset:88
	global_load_dwordx2 v[24:25], v[7:8], off offset:16
	s_waitcnt vmcnt(0)
	v_fma_f64 v[3:4], v[22:23], v[24:25], v[3:4]
.LBB0_27:                               ;   in Loop: Header=BB0_3 Depth=1
	s_or_b64 exec, exec, s[26:27]
	v_mov_b32_e32 v22, s69
	v_add_co_u32_e64 v7, s[26:27], s68, v7
	v_addc_co_u32_e64 v8, s[26:27], v8, v22, s[26:27]
	s_and_b64 s[26:27], s[24:25], s[18:19]
	s_and_b64 s[72:73], s[26:27], vcc
	s_and_b64 s[72:73], s[72:73], s[22:23]
	s_and_b64 s[72:73], s[72:73], s[12:13]
	;; [unrolled: 1-line block ×3, first 2 shown]
	s_and_saveexec_b64 s[72:73], s[86:87]
	s_cbranch_execz .LBB0_29
; %bb.28:                               ;   in Loop: Header=BB0_3 Depth=1
	global_load_dwordx2 v[22:23], v[5:6], off offset:96
	global_load_dwordx2 v[24:25], v[7:8], off
	s_waitcnt vmcnt(0)
	v_fma_f64 v[3:4], v[22:23], v[24:25], v[3:4]
.LBB0_29:                               ;   in Loop: Header=BB0_3 Depth=1
	s_or_b64 exec, exec, s[72:73]
	s_and_b64 s[72:73], s[26:27], s[2:3]
	s_and_b64 s[72:73], s[72:73], s[22:23]
	;; [unrolled: 1-line block ×4, first 2 shown]
	s_and_saveexec_b64 s[72:73], s[86:87]
	s_cbranch_execz .LBB0_31
; %bb.30:                               ;   in Loop: Header=BB0_3 Depth=1
	global_load_dwordx2 v[22:23], v[5:6], off offset:104
	global_load_dwordx2 v[24:25], v[7:8], off offset:8
	s_waitcnt vmcnt(0)
	v_fma_f64 v[3:4], v[22:23], v[24:25], v[3:4]
.LBB0_31:                               ;   in Loop: Header=BB0_3 Depth=1
	s_or_b64 exec, exec, s[72:73]
	s_and_b64 s[26:27], s[26:27], s[6:7]
	s_and_b64 s[26:27], s[26:27], s[22:23]
	;; [unrolled: 1-line block ×4, first 2 shown]
	s_and_saveexec_b64 s[26:27], s[72:73]
	s_cbranch_execz .LBB0_33
; %bb.32:                               ;   in Loop: Header=BB0_3 Depth=1
	global_load_dwordx2 v[22:23], v[5:6], off offset:112
	global_load_dwordx2 v[24:25], v[7:8], off offset:16
	s_waitcnt vmcnt(0)
	v_fma_f64 v[3:4], v[22:23], v[24:25], v[3:4]
.LBB0_33:                               ;   in Loop: Header=BB0_3 Depth=1
	s_or_b64 exec, exec, s[26:27]
	v_mov_b32_e32 v22, s69
	v_add_co_u32_e64 v7, s[26:27], s68, v7
	v_addc_co_u32_e64 v8, s[26:27], v8, v22, s[26:27]
	s_and_b64 s[24:25], s[24:25], s[20:21]
	s_and_b64 s[26:27], s[24:25], vcc
	s_and_b64 s[26:27], s[26:27], s[22:23]
	s_and_b64 s[26:27], s[26:27], s[14:15]
	;; [unrolled: 1-line block ×3, first 2 shown]
	s_and_saveexec_b64 s[26:27], s[72:73]
	s_cbranch_execz .LBB0_35
; %bb.34:                               ;   in Loop: Header=BB0_3 Depth=1
	global_load_dwordx2 v[22:23], v[5:6], off offset:120
	global_load_dwordx2 v[24:25], v[7:8], off
	s_waitcnt vmcnt(0)
	v_fma_f64 v[3:4], v[22:23], v[24:25], v[3:4]
.LBB0_35:                               ;   in Loop: Header=BB0_3 Depth=1
	s_or_b64 exec, exec, s[26:27]
	s_and_b64 s[26:27], s[24:25], s[2:3]
	s_and_b64 s[26:27], s[26:27], s[22:23]
	;; [unrolled: 1-line block ×4, first 2 shown]
	s_and_saveexec_b64 s[26:27], s[72:73]
	s_cbranch_execz .LBB0_37
; %bb.36:                               ;   in Loop: Header=BB0_3 Depth=1
	global_load_dwordx2 v[22:23], v[5:6], off offset:128
	global_load_dwordx2 v[24:25], v[7:8], off offset:8
	s_waitcnt vmcnt(0)
	v_fma_f64 v[3:4], v[22:23], v[24:25], v[3:4]
.LBB0_37:                               ;   in Loop: Header=BB0_3 Depth=1
	s_or_b64 exec, exec, s[26:27]
	s_and_b64 s[24:25], s[24:25], s[6:7]
	s_and_b64 s[22:23], s[24:25], s[22:23]
	;; [unrolled: 1-line block ×4, first 2 shown]
	s_and_saveexec_b64 s[22:23], s[24:25]
	s_cbranch_execz .LBB0_39
; %bb.38:                               ;   in Loop: Header=BB0_3 Depth=1
	global_load_dwordx2 v[22:23], v[5:6], off offset:136
	global_load_dwordx2 v[24:25], v[7:8], off offset:16
	s_waitcnt vmcnt(0)
	v_fma_f64 v[3:4], v[22:23], v[24:25], v[3:4]
.LBB0_39:                               ;   in Loop: Header=BB0_3 Depth=1
	s_or_b64 exec, exec, s[22:23]
	v_mov_b32_e32 v22, s69
	v_add_co_u32_e64 v7, s[22:23], s68, v7
	v_addc_co_u32_e64 v8, s[22:23], v8, v22, s[22:23]
	v_mov_b32_e32 v22, s71
	v_add_co_u32_e64 v7, s[22:23], s70, v7
	v_cmp_lt_i32_e64 s[24:25], -3, v21
	v_addc_co_u32_e64 v8, s[22:23], v8, v22, s[22:23]
	v_add_u32_e32 v22, 2, v21
	s_and_b64 s[16:17], s[24:25], s[16:17]
	v_cmp_gt_i32_e64 s[22:23], s29, v22
	s_and_b64 s[26:27], s[16:17], vcc
	s_and_b64 s[26:27], s[26:27], s[22:23]
	s_and_b64 s[26:27], s[26:27], s[10:11]
	;; [unrolled: 1-line block ×3, first 2 shown]
	s_and_saveexec_b64 s[26:27], s[72:73]
	s_cbranch_execz .LBB0_41
; %bb.40:                               ;   in Loop: Header=BB0_3 Depth=1
	global_load_dwordx2 v[21:22], v[5:6], off offset:144
	global_load_dwordx2 v[23:24], v[7:8], off
	s_waitcnt vmcnt(0)
	v_fma_f64 v[3:4], v[21:22], v[23:24], v[3:4]
.LBB0_41:                               ;   in Loop: Header=BB0_3 Depth=1
	s_or_b64 exec, exec, s[26:27]
	s_and_b64 s[26:27], s[16:17], s[2:3]
	s_and_b64 s[26:27], s[26:27], s[22:23]
	;; [unrolled: 1-line block ×4, first 2 shown]
	s_and_saveexec_b64 s[26:27], s[72:73]
	s_cbranch_execz .LBB0_43
; %bb.42:                               ;   in Loop: Header=BB0_3 Depth=1
	global_load_dwordx2 v[21:22], v[5:6], off offset:152
	global_load_dwordx2 v[23:24], v[7:8], off offset:8
	s_waitcnt vmcnt(0)
	v_fma_f64 v[3:4], v[21:22], v[23:24], v[3:4]
.LBB0_43:                               ;   in Loop: Header=BB0_3 Depth=1
	s_or_b64 exec, exec, s[26:27]
	s_and_b64 s[16:17], s[16:17], s[6:7]
	s_and_b64 s[16:17], s[16:17], s[22:23]
	;; [unrolled: 1-line block ×4, first 2 shown]
	s_and_saveexec_b64 s[10:11], s[16:17]
	s_cbranch_execz .LBB0_45
; %bb.44:                               ;   in Loop: Header=BB0_3 Depth=1
	global_load_dwordx2 v[21:22], v[5:6], off offset:160
	global_load_dwordx2 v[23:24], v[7:8], off offset:16
	s_waitcnt vmcnt(0)
	v_fma_f64 v[3:4], v[21:22], v[23:24], v[3:4]
.LBB0_45:                               ;   in Loop: Header=BB0_3 Depth=1
	s_or_b64 exec, exec, s[10:11]
	v_mov_b32_e32 v21, s69
	v_add_co_u32_e64 v7, s[10:11], s68, v7
	v_addc_co_u32_e64 v8, s[10:11], v8, v21, s[10:11]
	s_and_b64 s[10:11], s[24:25], s[18:19]
	s_and_b64 s[16:17], s[10:11], vcc
	s_and_b64 s[16:17], s[16:17], s[22:23]
	s_and_b64 s[16:17], s[16:17], s[12:13]
	;; [unrolled: 1-line block ×3, first 2 shown]
	s_and_saveexec_b64 s[16:17], s[18:19]
	s_cbranch_execz .LBB0_47
; %bb.46:                               ;   in Loop: Header=BB0_3 Depth=1
	global_load_dwordx2 v[21:22], v[5:6], off offset:168
	global_load_dwordx2 v[23:24], v[7:8], off
	s_waitcnt vmcnt(0)
	v_fma_f64 v[3:4], v[21:22], v[23:24], v[3:4]
.LBB0_47:                               ;   in Loop: Header=BB0_3 Depth=1
	s_or_b64 exec, exec, s[16:17]
	s_and_b64 s[16:17], s[10:11], s[2:3]
	s_and_b64 s[16:17], s[16:17], s[22:23]
	;; [unrolled: 1-line block ×4, first 2 shown]
	s_and_saveexec_b64 s[16:17], s[18:19]
	s_cbranch_execz .LBB0_49
; %bb.48:                               ;   in Loop: Header=BB0_3 Depth=1
	global_load_dwordx2 v[21:22], v[5:6], off offset:176
	global_load_dwordx2 v[23:24], v[7:8], off offset:8
	s_waitcnt vmcnt(0)
	v_fma_f64 v[3:4], v[21:22], v[23:24], v[3:4]
.LBB0_49:                               ;   in Loop: Header=BB0_3 Depth=1
	s_or_b64 exec, exec, s[16:17]
	s_and_b64 s[10:11], s[10:11], s[6:7]
	s_and_b64 s[10:11], s[10:11], s[22:23]
	;; [unrolled: 1-line block ×4, first 2 shown]
	s_and_saveexec_b64 s[10:11], s[12:13]
	s_cbranch_execz .LBB0_51
; %bb.50:                               ;   in Loop: Header=BB0_3 Depth=1
	global_load_dwordx2 v[21:22], v[5:6], off offset:184
	global_load_dwordx2 v[23:24], v[7:8], off offset:16
	s_waitcnt vmcnt(0)
	v_fma_f64 v[3:4], v[21:22], v[23:24], v[3:4]
.LBB0_51:                               ;   in Loop: Header=BB0_3 Depth=1
	s_or_b64 exec, exec, s[10:11]
	v_mov_b32_e32 v21, s69
	v_add_co_u32_e64 v7, s[10:11], s68, v7
	v_addc_co_u32_e64 v8, s[10:11], v8, v21, s[10:11]
	s_and_b64 s[10:11], s[24:25], s[20:21]
	s_and_b64 s[12:13], s[10:11], vcc
	s_and_b64 s[12:13], s[12:13], s[22:23]
	s_and_b64 s[12:13], s[12:13], s[14:15]
	;; [unrolled: 1-line block ×3, first 2 shown]
	s_and_saveexec_b64 s[0:1], s[12:13]
	s_cbranch_execz .LBB0_53
; %bb.52:                               ;   in Loop: Header=BB0_3 Depth=1
	global_load_dwordx2 v[21:22], v[5:6], off offset:192
	global_load_dwordx2 v[23:24], v[7:8], off
	s_waitcnt vmcnt(0)
	v_fma_f64 v[3:4], v[21:22], v[23:24], v[3:4]
.LBB0_53:                               ;   in Loop: Header=BB0_3 Depth=1
	s_or_b64 exec, exec, s[0:1]
	s_and_b64 s[0:1], s[10:11], s[2:3]
	s_and_b64 s[0:1], s[0:1], s[22:23]
	;; [unrolled: 1-line block ×4, first 2 shown]
	s_and_saveexec_b64 s[0:1], s[2:3]
	s_cbranch_execz .LBB0_55
; %bb.54:                               ;   in Loop: Header=BB0_3 Depth=1
	global_load_dwordx2 v[21:22], v[5:6], off offset:200
	global_load_dwordx2 v[23:24], v[7:8], off offset:8
	s_waitcnt vmcnt(0)
	v_fma_f64 v[3:4], v[21:22], v[23:24], v[3:4]
.LBB0_55:                               ;   in Loop: Header=BB0_3 Depth=1
	s_or_b64 exec, exec, s[0:1]
	s_and_b64 s[0:1], s[10:11], s[6:7]
	s_and_b64 s[0:1], s[0:1], s[22:23]
	s_and_b64 s[0:1], s[0:1], s[14:15]
	s_and_b64 s[2:3], s[0:1], s[8:9]
	s_and_saveexec_b64 s[0:1], s[2:3]
	s_cbranch_execz .LBB0_57
; %bb.56:                               ;   in Loop: Header=BB0_3 Depth=1
	global_load_dwordx2 v[5:6], v[5:6], off offset:208
	s_nop 0
	global_load_dwordx2 v[7:8], v[7:8], off offset:16
	s_waitcnt vmcnt(0)
	v_fma_f64 v[3:4], v[5:6], v[7:8], v[3:4]
.LBB0_57:                               ;   in Loop: Header=BB0_3 Depth=1
	s_or_b64 exec, exec, s[0:1]
	s_andn2_b64 vcc, exec, s[62:63]
	s_cbranch_vccnz .LBB0_2
; %bb.58:                               ;   in Loop: Header=BB0_3 Depth=1
	v_lshlrev_b64 v[5:6], 3, v[1:2]
	v_mov_b32_e32 v2, s57
	v_add_co_u32_e32 v5, vcc, s56, v5
	v_addc_co_u32_e32 v6, vcc, v2, v6, vcc
	global_load_dwordx2 v[5:6], v[5:6], off
	s_waitcnt vmcnt(0)
	v_add_f64 v[3:4], v[3:4], v[5:6]
	s_branch .LBB0_2
.LBB0_59:
	s_endpgm
	.section	.rodata,"a",@progbits
	.p2align	6, 0x0
	.amdhsa_kernel _ZN2at6native12_GLOBAL__N_128conv_depthwise3d_cuda_kernelIddLi3ELi3ELi3ELi1ELi1ELi1EEEvN5torch10headeronly6detail27GenericPackedTensorAccessorINS5_14TensorAccessorIN3c108ArrayRefIlEEKT_Lm4ENS4_16DefaultPtrTraitsEiEENS_6detail16IndexBoundsCheckILm5EiEESC_Lm5ESD_iEENS6_INS7_ISA_SB_Lm4ESD_iEESH_SB_Lm5ESD_iEESI_PSC_iiiiiiiii
		.amdhsa_group_segment_fixed_size 0
		.amdhsa_private_segment_fixed_size 0
		.amdhsa_kernarg_size 448
		.amdhsa_user_sgpr_count 6
		.amdhsa_user_sgpr_private_segment_buffer 1
		.amdhsa_user_sgpr_dispatch_ptr 0
		.amdhsa_user_sgpr_queue_ptr 0
		.amdhsa_user_sgpr_kernarg_segment_ptr 1
		.amdhsa_user_sgpr_dispatch_id 0
		.amdhsa_user_sgpr_flat_scratch_init 0
		.amdhsa_user_sgpr_private_segment_size 0
		.amdhsa_uses_dynamic_stack 0
		.amdhsa_system_sgpr_private_segment_wavefront_offset 0
		.amdhsa_system_sgpr_workgroup_id_x 1
		.amdhsa_system_sgpr_workgroup_id_y 0
		.amdhsa_system_sgpr_workgroup_id_z 0
		.amdhsa_system_sgpr_workgroup_info 0
		.amdhsa_system_vgpr_workitem_id 0
		.amdhsa_next_free_vgpr 28
		.amdhsa_next_free_sgpr 88
		.amdhsa_reserve_vcc 1
		.amdhsa_reserve_flat_scratch 0
		.amdhsa_float_round_mode_32 0
		.amdhsa_float_round_mode_16_64 0
		.amdhsa_float_denorm_mode_32 3
		.amdhsa_float_denorm_mode_16_64 3
		.amdhsa_dx10_clamp 1
		.amdhsa_ieee_mode 1
		.amdhsa_fp16_overflow 0
		.amdhsa_exception_fp_ieee_invalid_op 0
		.amdhsa_exception_fp_denorm_src 0
		.amdhsa_exception_fp_ieee_div_zero 0
		.amdhsa_exception_fp_ieee_overflow 0
		.amdhsa_exception_fp_ieee_underflow 0
		.amdhsa_exception_fp_ieee_inexact 0
		.amdhsa_exception_int_div_zero 0
	.end_amdhsa_kernel
	.section	.text._ZN2at6native12_GLOBAL__N_128conv_depthwise3d_cuda_kernelIddLi3ELi3ELi3ELi1ELi1ELi1EEEvN5torch10headeronly6detail27GenericPackedTensorAccessorINS5_14TensorAccessorIN3c108ArrayRefIlEEKT_Lm4ENS4_16DefaultPtrTraitsEiEENS_6detail16IndexBoundsCheckILm5EiEESC_Lm5ESD_iEENS6_INS7_ISA_SB_Lm4ESD_iEESH_SB_Lm5ESD_iEESI_PSC_iiiiiiiii,"axG",@progbits,_ZN2at6native12_GLOBAL__N_128conv_depthwise3d_cuda_kernelIddLi3ELi3ELi3ELi1ELi1ELi1EEEvN5torch10headeronly6detail27GenericPackedTensorAccessorINS5_14TensorAccessorIN3c108ArrayRefIlEEKT_Lm4ENS4_16DefaultPtrTraitsEiEENS_6detail16IndexBoundsCheckILm5EiEESC_Lm5ESD_iEENS6_INS7_ISA_SB_Lm4ESD_iEESH_SB_Lm5ESD_iEESI_PSC_iiiiiiiii,comdat
.Lfunc_end0:
	.size	_ZN2at6native12_GLOBAL__N_128conv_depthwise3d_cuda_kernelIddLi3ELi3ELi3ELi1ELi1ELi1EEEvN5torch10headeronly6detail27GenericPackedTensorAccessorINS5_14TensorAccessorIN3c108ArrayRefIlEEKT_Lm4ENS4_16DefaultPtrTraitsEiEENS_6detail16IndexBoundsCheckILm5EiEESC_Lm5ESD_iEENS6_INS7_ISA_SB_Lm4ESD_iEESH_SB_Lm5ESD_iEESI_PSC_iiiiiiiii, .Lfunc_end0-_ZN2at6native12_GLOBAL__N_128conv_depthwise3d_cuda_kernelIddLi3ELi3ELi3ELi1ELi1ELi1EEEvN5torch10headeronly6detail27GenericPackedTensorAccessorINS5_14TensorAccessorIN3c108ArrayRefIlEEKT_Lm4ENS4_16DefaultPtrTraitsEiEENS_6detail16IndexBoundsCheckILm5EiEESC_Lm5ESD_iEENS6_INS7_ISA_SB_Lm4ESD_iEESH_SB_Lm5ESD_iEESI_PSC_iiiiiiiii
                                        ; -- End function
	.set _ZN2at6native12_GLOBAL__N_128conv_depthwise3d_cuda_kernelIddLi3ELi3ELi3ELi1ELi1ELi1EEEvN5torch10headeronly6detail27GenericPackedTensorAccessorINS5_14TensorAccessorIN3c108ArrayRefIlEEKT_Lm4ENS4_16DefaultPtrTraitsEiEENS_6detail16IndexBoundsCheckILm5EiEESC_Lm5ESD_iEENS6_INS7_ISA_SB_Lm4ESD_iEESH_SB_Lm5ESD_iEESI_PSC_iiiiiiiii.num_vgpr, 28
	.set _ZN2at6native12_GLOBAL__N_128conv_depthwise3d_cuda_kernelIddLi3ELi3ELi3ELi1ELi1ELi1EEEvN5torch10headeronly6detail27GenericPackedTensorAccessorINS5_14TensorAccessorIN3c108ArrayRefIlEEKT_Lm4ENS4_16DefaultPtrTraitsEiEENS_6detail16IndexBoundsCheckILm5EiEESC_Lm5ESD_iEENS6_INS7_ISA_SB_Lm4ESD_iEESH_SB_Lm5ESD_iEESI_PSC_iiiiiiiii.num_agpr, 0
	.set _ZN2at6native12_GLOBAL__N_128conv_depthwise3d_cuda_kernelIddLi3ELi3ELi3ELi1ELi1ELi1EEEvN5torch10headeronly6detail27GenericPackedTensorAccessorINS5_14TensorAccessorIN3c108ArrayRefIlEEKT_Lm4ENS4_16DefaultPtrTraitsEiEENS_6detail16IndexBoundsCheckILm5EiEESC_Lm5ESD_iEENS6_INS7_ISA_SB_Lm4ESD_iEESH_SB_Lm5ESD_iEESI_PSC_iiiiiiiii.numbered_sgpr, 88
	.set _ZN2at6native12_GLOBAL__N_128conv_depthwise3d_cuda_kernelIddLi3ELi3ELi3ELi1ELi1ELi1EEEvN5torch10headeronly6detail27GenericPackedTensorAccessorINS5_14TensorAccessorIN3c108ArrayRefIlEEKT_Lm4ENS4_16DefaultPtrTraitsEiEENS_6detail16IndexBoundsCheckILm5EiEESC_Lm5ESD_iEENS6_INS7_ISA_SB_Lm4ESD_iEESH_SB_Lm5ESD_iEESI_PSC_iiiiiiiii.num_named_barrier, 0
	.set _ZN2at6native12_GLOBAL__N_128conv_depthwise3d_cuda_kernelIddLi3ELi3ELi3ELi1ELi1ELi1EEEvN5torch10headeronly6detail27GenericPackedTensorAccessorINS5_14TensorAccessorIN3c108ArrayRefIlEEKT_Lm4ENS4_16DefaultPtrTraitsEiEENS_6detail16IndexBoundsCheckILm5EiEESC_Lm5ESD_iEENS6_INS7_ISA_SB_Lm4ESD_iEESH_SB_Lm5ESD_iEESI_PSC_iiiiiiiii.private_seg_size, 0
	.set _ZN2at6native12_GLOBAL__N_128conv_depthwise3d_cuda_kernelIddLi3ELi3ELi3ELi1ELi1ELi1EEEvN5torch10headeronly6detail27GenericPackedTensorAccessorINS5_14TensorAccessorIN3c108ArrayRefIlEEKT_Lm4ENS4_16DefaultPtrTraitsEiEENS_6detail16IndexBoundsCheckILm5EiEESC_Lm5ESD_iEENS6_INS7_ISA_SB_Lm4ESD_iEESH_SB_Lm5ESD_iEESI_PSC_iiiiiiiii.uses_vcc, 1
	.set _ZN2at6native12_GLOBAL__N_128conv_depthwise3d_cuda_kernelIddLi3ELi3ELi3ELi1ELi1ELi1EEEvN5torch10headeronly6detail27GenericPackedTensorAccessorINS5_14TensorAccessorIN3c108ArrayRefIlEEKT_Lm4ENS4_16DefaultPtrTraitsEiEENS_6detail16IndexBoundsCheckILm5EiEESC_Lm5ESD_iEENS6_INS7_ISA_SB_Lm4ESD_iEESH_SB_Lm5ESD_iEESI_PSC_iiiiiiiii.uses_flat_scratch, 0
	.set _ZN2at6native12_GLOBAL__N_128conv_depthwise3d_cuda_kernelIddLi3ELi3ELi3ELi1ELi1ELi1EEEvN5torch10headeronly6detail27GenericPackedTensorAccessorINS5_14TensorAccessorIN3c108ArrayRefIlEEKT_Lm4ENS4_16DefaultPtrTraitsEiEENS_6detail16IndexBoundsCheckILm5EiEESC_Lm5ESD_iEENS6_INS7_ISA_SB_Lm4ESD_iEESH_SB_Lm5ESD_iEESI_PSC_iiiiiiiii.has_dyn_sized_stack, 0
	.set _ZN2at6native12_GLOBAL__N_128conv_depthwise3d_cuda_kernelIddLi3ELi3ELi3ELi1ELi1ELi1EEEvN5torch10headeronly6detail27GenericPackedTensorAccessorINS5_14TensorAccessorIN3c108ArrayRefIlEEKT_Lm4ENS4_16DefaultPtrTraitsEiEENS_6detail16IndexBoundsCheckILm5EiEESC_Lm5ESD_iEENS6_INS7_ISA_SB_Lm4ESD_iEESH_SB_Lm5ESD_iEESI_PSC_iiiiiiiii.has_recursion, 0
	.set _ZN2at6native12_GLOBAL__N_128conv_depthwise3d_cuda_kernelIddLi3ELi3ELi3ELi1ELi1ELi1EEEvN5torch10headeronly6detail27GenericPackedTensorAccessorINS5_14TensorAccessorIN3c108ArrayRefIlEEKT_Lm4ENS4_16DefaultPtrTraitsEiEENS_6detail16IndexBoundsCheckILm5EiEESC_Lm5ESD_iEENS6_INS7_ISA_SB_Lm4ESD_iEESH_SB_Lm5ESD_iEESI_PSC_iiiiiiiii.has_indirect_call, 0
	.section	.AMDGPU.csdata,"",@progbits
; Kernel info:
; codeLenInByte = 3444
; TotalNumSgprs: 92
; NumVgprs: 28
; ScratchSize: 0
; MemoryBound: 1
; FloatMode: 240
; IeeeMode: 1
; LDSByteSize: 0 bytes/workgroup (compile time only)
; SGPRBlocks: 11
; VGPRBlocks: 6
; NumSGPRsForWavesPerEU: 92
; NumVGPRsForWavesPerEU: 28
; Occupancy: 8
; WaveLimiterHint : 0
; COMPUTE_PGM_RSRC2:SCRATCH_EN: 0
; COMPUTE_PGM_RSRC2:USER_SGPR: 6
; COMPUTE_PGM_RSRC2:TRAP_HANDLER: 0
; COMPUTE_PGM_RSRC2:TGID_X_EN: 1
; COMPUTE_PGM_RSRC2:TGID_Y_EN: 0
; COMPUTE_PGM_RSRC2:TGID_Z_EN: 0
; COMPUTE_PGM_RSRC2:TIDIG_COMP_CNT: 0
	.section	.text._ZN2at6native12_GLOBAL__N_128conv_depthwise3d_cuda_kernelIddLin1ELin1ELin1ELi1ELi1ELi1EEEvN5torch10headeronly6detail27GenericPackedTensorAccessorINS5_14TensorAccessorIN3c108ArrayRefIlEEKT_Lm4ENS4_16DefaultPtrTraitsEiEENS_6detail16IndexBoundsCheckILm5EiEESC_Lm5ESD_iEENS6_INS7_ISA_SB_Lm4ESD_iEESH_SB_Lm5ESD_iEESI_PSC_iiiiiiiii,"axG",@progbits,_ZN2at6native12_GLOBAL__N_128conv_depthwise3d_cuda_kernelIddLin1ELin1ELin1ELi1ELi1ELi1EEEvN5torch10headeronly6detail27GenericPackedTensorAccessorINS5_14TensorAccessorIN3c108ArrayRefIlEEKT_Lm4ENS4_16DefaultPtrTraitsEiEENS_6detail16IndexBoundsCheckILm5EiEESC_Lm5ESD_iEENS6_INS7_ISA_SB_Lm4ESD_iEESH_SB_Lm5ESD_iEESI_PSC_iiiiiiiii,comdat
	.globl	_ZN2at6native12_GLOBAL__N_128conv_depthwise3d_cuda_kernelIddLin1ELin1ELin1ELi1ELi1ELi1EEEvN5torch10headeronly6detail27GenericPackedTensorAccessorINS5_14TensorAccessorIN3c108ArrayRefIlEEKT_Lm4ENS4_16DefaultPtrTraitsEiEENS_6detail16IndexBoundsCheckILm5EiEESC_Lm5ESD_iEENS6_INS7_ISA_SB_Lm4ESD_iEESH_SB_Lm5ESD_iEESI_PSC_iiiiiiiii ; -- Begin function _ZN2at6native12_GLOBAL__N_128conv_depthwise3d_cuda_kernelIddLin1ELin1ELin1ELi1ELi1ELi1EEEvN5torch10headeronly6detail27GenericPackedTensorAccessorINS5_14TensorAccessorIN3c108ArrayRefIlEEKT_Lm4ENS4_16DefaultPtrTraitsEiEENS_6detail16IndexBoundsCheckILm5EiEESC_Lm5ESD_iEENS6_INS7_ISA_SB_Lm4ESD_iEESH_SB_Lm5ESD_iEESI_PSC_iiiiiiiii
	.p2align	8
	.type	_ZN2at6native12_GLOBAL__N_128conv_depthwise3d_cuda_kernelIddLin1ELin1ELin1ELi1ELi1ELi1EEEvN5torch10headeronly6detail27GenericPackedTensorAccessorINS5_14TensorAccessorIN3c108ArrayRefIlEEKT_Lm4ENS4_16DefaultPtrTraitsEiEENS_6detail16IndexBoundsCheckILm5EiEESC_Lm5ESD_iEENS6_INS7_ISA_SB_Lm4ESD_iEESH_SB_Lm5ESD_iEESI_PSC_iiiiiiiii,@function
_ZN2at6native12_GLOBAL__N_128conv_depthwise3d_cuda_kernelIddLin1ELin1ELin1ELi1ELi1ELi1EEEvN5torch10headeronly6detail27GenericPackedTensorAccessorINS5_14TensorAccessorIN3c108ArrayRefIlEEKT_Lm4ENS4_16DefaultPtrTraitsEiEENS_6detail16IndexBoundsCheckILm5EiEESC_Lm5ESD_iEENS6_INS7_ISA_SB_Lm4ESD_iEESH_SB_Lm5ESD_iEESI_PSC_iiiiiiiii: ; @_ZN2at6native12_GLOBAL__N_128conv_depthwise3d_cuda_kernelIddLin1ELin1ELin1ELi1ELi1ELi1EEEvN5torch10headeronly6detail27GenericPackedTensorAccessorINS5_14TensorAccessorIN3c108ArrayRefIlEEKT_Lm4ENS4_16DefaultPtrTraitsEiEENS_6detail16IndexBoundsCheckILm5EiEESC_Lm5ESD_iEENS6_INS7_ISA_SB_Lm4ESD_iEESH_SB_Lm5ESD_iEESI_PSC_iiiiiiiii
; %bb.0:
	s_load_dwordx4 s[8:11], s[4:5], 0xc
	s_load_dwordx4 s[12:15], s[4:5], 0x38
	s_load_dwordx2 s[34:35], s[4:5], 0x48
	s_load_dword s3, s[4:5], 0xcc
	v_mov_b32_e32 v1, 0
	v_mov_b32_e32 v3, s6
	s_waitcnt lgkmcnt(0)
	s_abs_i32 s2, s8
	v_cvt_f32_u32_e32 v2, s2
	s_add_u32 s0, s4, 0xc0
	s_addc_u32 s1, s5, 0
	s_and_b32 s6, s3, 0xffff
	v_rcp_iflag_f32_e32 v2, v2
	v_mad_u64_u32 v[0:1], s[16:17], s6, v3, v[0:1]
	s_mul_i32 s36, s35, s12
	v_mul_f32_e32 v2, 0x4f7ffffe, v2
	v_cvt_u32_f32_e32 v2, v2
	s_ashr_i32 s37, s36, 31
	v_cmp_gt_i64_e32 vcc, s[36:37], v[0:1]
	v_readfirstlane_b32 s3, v2
	s_and_saveexec_b64 s[16:17], vcc
	s_cbranch_execz .LBB1_17
; %bb.1:
	s_sub_i32 s16, 0, s2
	s_mul_i32 s16, s16, s3
	s_mul_hi_u32 s16, s3, s16
	s_ashr_i32 s7, s8, 31
	s_abs_i32 s8, s13
	s_add_i32 s3, s3, s16
	s_mul_hi_u32 s3, s8, s3
	s_load_dwordx2 s[38:39], s[4:5], 0x90
	s_load_dwordx4 s[16:19], s[4:5], 0x98
	s_load_dwordx2 s[40:41], s[4:5], 0xa8
	s_load_dwordx4 s[20:23], s[4:5], 0x70
	s_waitcnt lgkmcnt(0)
	s_mul_i32 s23, s3, s2
	s_ashr_i32 s12, s13, 31
	s_sub_i32 s23, s8, s23
	s_xor_b32 s7, s12, s7
	s_add_i32 s24, s3, 1
	s_sub_i32 s25, s23, s2
	s_cmp_ge_u32 s23, s2
	s_cselect_b32 s3, s24, s3
	s_cselect_b32 s23, s25, s23
	s_add_i32 s24, s3, 1
	s_cmp_ge_u32 s23, s2
	s_cselect_b32 s2, s24, s3
	s_xor_b32 s2, s2, s7
	s_sub_i32 s7, s2, s7
	s_cmp_gt_i32 s20, 0
	s_cselect_b64 s[56:57], -1, 0
	s_cmp_gt_i32 s21, 0
	s_cselect_b64 s[44:45], -1, 0
	;; [unrolled: 2-line block ×3, first 2 shown]
	s_sub_i32 s2, s10, s21
	s_load_dword s58, s[0:1], 0x0
	s_load_dword s23, s[4:5], 0x7c
	s_load_dwordx2 s[42:43], s[4:5], 0x0
	s_load_dwordx4 s[24:27], s[4:5], 0x1c
	s_sub_i32 s0, s11, s22
	s_mul_i32 s2, s11, s2
	s_ashr_i32 s1, s0, 31
	s_ashr_i32 s3, s2, 31
	s_cmp_lg_u64 s[38:39], 0
	s_cselect_b64 s[48:49], -1, 0
	s_abs_i32 s33, s34
	v_cvt_f32_u32_e32 v2, s33
	s_load_dword s62, s[4:5], 0x2c
	s_load_dwordx2 s[50:51], s[4:5], 0x30
	s_load_dwordx2 s[54:55], s[4:5], 0x60
	s_load_dwordx4 s[28:31], s[4:5], 0x50
	s_sub_i32 s4, 0, s33
	v_rcp_iflag_f32_e32 v2, v2
	s_abs_i32 s65, s14
	v_cvt_f32_u32_e32 v5, s65
	s_abs_i32 s63, s15
	v_mul_f32_e32 v2, 0x4f7ffffe, v2
	v_cvt_u32_f32_e32 v2, v2
	v_rcp_iflag_f32_e32 v5, v5
	v_cvt_f32_u32_e32 v3, s63
	s_abs_i32 s67, s7
	v_mul_lo_u32 v4, s4, v2
	v_cvt_f32_u32_e32 v7, s67
	v_rcp_iflag_f32_e32 v3, v3
	s_sub_i32 s4, 0, s63
	v_mul_hi_u32 v4, v2, v4
	v_rcp_iflag_f32_e32 v7, v7
	v_mul_f32_e32 v3, 0x4f7ffffe, v3
	v_cvt_u32_f32_e32 v3, v3
	v_add_u32_e32 v10, v2, v4
	v_mul_f32_e32 v4, 0x4f7ffffe, v5
	v_cvt_f32_u32_e32 v5, s8
	v_cvt_u32_f32_e32 v4, v4
	v_mul_f32_e32 v7, 0x4f7ffffe, v7
	v_mul_lo_u32 v6, s4, v3
	v_rcp_iflag_f32_e32 v5, v5
	v_cvt_u32_f32_e32 v7, v7
	s_sub_i32 s4, 0, s65
	v_mul_lo_u32 v8, s4, v4
	v_mul_f32_e32 v5, 0x4f7ffffe, v5
	v_cvt_u32_f32_e32 v5, v5
	s_sub_i32 s4, 0, s8
	v_mul_hi_u32 v2, v3, v6
	v_mul_hi_u32 v8, v4, v8
	v_mul_lo_u32 v9, s4, v5
	s_sub_i32 s4, 0, s67
	v_mul_lo_u32 v12, s4, v7
	v_add_u32_e32 v11, v3, v2
	v_mul_hi_u32 v9, v5, v9
	v_cndmask_b32_e64 v6, 0, 1, s[56:57]
	v_mul_hi_u32 v2, v7, v12
	s_mov_b64 s[52:53], 0
	s_waitcnt lgkmcnt(0)
	s_mul_i32 s64, s58, s6
	s_ashr_i32 s66, s34, 31
	s_ashr_i32 s68, s15, 31
	v_add_u32_e32 v12, v4, v8
	v_add_u32_e32 v13, v5, v9
	s_ashr_i32 s69, s7, 31
	v_add_u32_e32 v14, v7, v2
	s_lshl_b64 s[56:57], s[0:1], 3
	s_lshl_b64 s[58:59], s[2:3], 3
	s_ashr_i32 s70, s14, 31
	v_cmp_ne_u32_e64 s[0:1], 1, v6
	s_branch .LBB1_3
.LBB1_2:                                ;   in Loop: Header=BB1_3 Depth=1
	v_mul_lo_u32 v6, v18, s35
	v_mul_lo_u32 v2, s28, v2
	v_mov_b32_e32 v3, s51
	v_ashrrev_i32_e32 v7, 31, v6
	v_lshlrev_b64 v[6:7], 3, v[6:7]
	v_add_co_u32_e32 v8, vcc, s50, v6
	v_addc_co_u32_e32 v7, vcc, v3, v7, vcc
	v_ashrrev_i32_e32 v3, 31, v2
	v_mul_lo_u32 v6, s29, v17
	v_lshlrev_b64 v[2:3], 3, v[2:3]
	v_add_co_u32_e32 v8, vcc, v8, v2
	v_addc_co_u32_e32 v9, vcc, v7, v3, vcc
	v_ashrrev_i32_e32 v7, 31, v6
	v_lshlrev_b64 v[2:3], 3, v[6:7]
	v_mul_lo_u32 v6, s30, v16
	v_add_co_u32_e32 v8, vcc, v8, v2
	v_addc_co_u32_e32 v9, vcc, v9, v3, vcc
	v_ashrrev_i32_e32 v7, 31, v6
	v_lshlrev_b64 v[2:3], 3, v[6:7]
	v_mul_lo_u32 v6, s31, v15
	v_add_co_u32_e32 v8, vcc, v8, v2
	v_addc_co_u32_e32 v9, vcc, v9, v3, vcc
	v_ashrrev_i32_e32 v7, 31, v6
	v_add_co_u32_e32 v0, vcc, s64, v0
	v_lshlrev_b64 v[2:3], 3, v[6:7]
	v_addc_co_u32_e32 v1, vcc, 0, v1, vcc
	v_cmp_le_i64_e32 vcc, s[36:37], v[0:1]
	v_add_co_u32_e64 v2, s[2:3], v8, v2
	v_addc_co_u32_e64 v3, s[2:3], v9, v3, s[2:3]
	s_or_b64 s[52:53], vcc, s[52:53]
	global_store_dwordx2 v[2:3], v[4:5], off
	s_andn2_b64 exec, exec, s[52:53]
	s_cbranch_execz .LBB1_17
.LBB1_3:                                ; =>This Loop Header: Depth=1
                                        ;     Child Loop BB1_6 Depth 2
                                        ;       Child Loop BB1_9 Depth 3
                                        ;         Child Loop BB1_12 Depth 4
	v_sub_u32_e32 v2, 0, v0
	v_max_i32_e32 v2, v0, v2
	v_mul_hi_u32 v3, v2, v10
	v_ashrrev_i32_e32 v5, 31, v0
	v_xor_b32_e32 v5, s66, v5
	v_mul_lo_u32 v4, v3, s33
	v_add_u32_e32 v6, 1, v3
	v_sub_u32_e32 v2, v2, v4
	v_cmp_le_u32_e32 vcc, s33, v2
	v_subrev_u32_e32 v4, s33, v2
	v_cndmask_b32_e32 v3, v3, v6, vcc
	v_cndmask_b32_e32 v2, v2, v4, vcc
	v_add_u32_e32 v4, 1, v3
	v_cmp_le_u32_e32 vcc, s33, v2
	v_cndmask_b32_e32 v2, v3, v4, vcc
	v_xor_b32_e32 v2, v2, v5
	v_sub_u32_e32 v2, v2, v5
	v_sub_u32_e32 v3, 0, v2
	v_max_i32_e32 v3, v2, v3
	v_mul_hi_u32 v4, v3, v11
	v_ashrrev_i32_e32 v6, 31, v2
	v_xor_b32_e32 v6, s68, v6
	v_mul_lo_u32 v5, v4, s63
	v_add_u32_e32 v7, 1, v4
	v_sub_u32_e32 v3, v3, v5
	v_cmp_le_u32_e32 vcc, s63, v3
	v_subrev_u32_e32 v5, s63, v3
	v_cndmask_b32_e32 v4, v4, v7, vcc
	v_cndmask_b32_e32 v3, v3, v5, vcc
	v_add_u32_e32 v5, 1, v4
	v_cmp_le_u32_e32 vcc, s63, v3
	v_cndmask_b32_e32 v3, v4, v5, vcc
	v_xor_b32_e32 v3, v3, v6
	v_sub_u32_e32 v3, v3, v6
	;; [unrolled: 17-line block ×3, first 2 shown]
	v_sub_u32_e32 v5, 0, v4
	v_max_i32_e32 v5, v4, v5
	v_mul_hi_u32 v6, v5, v13
	v_ashrrev_i32_e32 v15, 31, v4
	v_xor_b32_e32 v15, s12, v15
	v_mul_lo_u32 v8, v3, s15
	v_mul_lo_u32 v9, v6, s8
	;; [unrolled: 1-line block ×4, first 2 shown]
	v_sub_u32_e32 v16, v2, v8
	v_sub_u32_e32 v5, v5, v9
	v_add_u32_e32 v9, 1, v6
	v_cmp_le_u32_e32 vcc, s8, v5
	v_cndmask_b32_e32 v6, v6, v9, vcc
	v_subrev_u32_e32 v9, s8, v5
	v_cndmask_b32_e32 v5, v5, v9, vcc
	v_add_u32_e32 v9, 1, v6
	v_cmp_le_u32_e32 vcc, s8, v5
	v_cndmask_b32_e32 v5, v6, v9, vcc
	v_xor_b32_e32 v5, v5, v15
	v_sub_u32_e32 v18, v5, v15
	v_mul_lo_u32 v5, v18, s13
	v_sub_u32_e32 v15, v0, v7
	v_sub_u32_e32 v17, v3, v17
	s_and_b64 vcc, exec, s[0:1]
	v_sub_u32_e32 v2, v4, v5
	v_ashrrev_i32_e32 v3, 31, v2
	s_cbranch_vccnz .LBB1_14
; %bb.4:                                ;   in Loop: Header=BB1_3 Depth=1
	v_mul_lo_u32 v5, v15, s18
	v_mul_lo_u32 v6, v16, s17
	;; [unrolled: 1-line block ×3, first 2 shown]
	v_xor_b32_e32 v22, s69, v3
	v_subrev_u32_e32 v19, s41, v5
	v_sub_u32_e32 v5, 0, v2
	v_max_i32_e32 v8, v2, v5
	v_mul_hi_u32 v9, v8, v14
	v_subrev_u32_e32 v20, s40, v6
	v_mul_lo_u32 v7, v17, s16
	v_ashrrev_i32_e32 v5, 31, v4
	v_mul_lo_u32 v6, v9, s67
	v_lshlrev_b64 v[4:5], 3, v[4:5]
	v_subrev_u32_e32 v21, s19, v7
	v_mov_b32_e32 v7, s43
	v_sub_u32_e32 v6, v8, v6
	v_add_u32_e32 v8, 1, v9
	v_cmp_le_u32_e32 vcc, s67, v6
	v_cndmask_b32_e32 v8, v9, v8, vcc
	v_subrev_u32_e32 v9, s67, v6
	v_cndmask_b32_e32 v6, v6, v9, vcc
	v_add_u32_e32 v9, 1, v8
	v_cmp_le_u32_e32 vcc, s67, v6
	v_cndmask_b32_e32 v6, v8, v9, vcc
	v_xor_b32_e32 v6, v6, v22
	v_sub_u32_e32 v6, v6, v22
	v_mul_lo_u32 v6, s25, v6
	v_add_co_u32_e32 v8, vcc, s42, v4
	v_addc_co_u32_e32 v9, vcc, v7, v5, vcc
	v_ashrrev_i32_e32 v7, 31, v6
	v_lshlrev_b64 v[4:5], 3, v[6:7]
	v_mul_lo_u32 v6, s26, v21
	v_add_co_u32_e32 v8, vcc, v8, v4
	v_addc_co_u32_e32 v9, vcc, v9, v5, vcc
	v_ashrrev_i32_e32 v7, 31, v6
	v_lshlrev_b64 v[4:5], 3, v[6:7]
	;; [unrolled: 5-line block ×3, first 2 shown]
	v_mul_lo_u32 v6, s62, v19
	v_add_co_u32_e32 v22, vcc, v8, v4
	v_mul_lo_u32 v8, s23, v2
	v_ashrrev_i32_e32 v7, 31, v6
	v_addc_co_u32_e32 v9, vcc, v9, v5, vcc
	v_lshlrev_b64 v[4:5], 3, v[6:7]
	s_mov_b32 s71, 0
	v_add_co_u32_e32 v6, vcc, v22, v4
	v_addc_co_u32_e32 v7, vcc, v9, v5, vcc
	v_ashrrev_i32_e32 v9, 31, v8
	v_lshlrev_b64 v[8:9], 3, v[8:9]
	v_mov_b32_e32 v22, s55
	v_mov_b32_e32 v4, 0
	v_add_co_u32_e32 v8, vcc, s54, v8
	v_mov_b32_e32 v5, 0
	v_addc_co_u32_e32 v9, vcc, v22, v9, vcc
	s_branch .LBB1_6
.LBB1_5:                                ;   in Loop: Header=BB1_6 Depth=2
	v_mov_b32_e32 v22, s59
	s_add_i32 s71, s71, 1
	v_add_co_u32_e32 v6, vcc, s58, v6
	s_cmp_eq_u32 s71, s20
	v_addc_co_u32_e32 v7, vcc, v7, v22, vcc
	s_cbranch_scc1 .LBB1_15
.LBB1_6:                                ;   Parent Loop BB1_3 Depth=1
                                        ; =>  This Loop Header: Depth=2
                                        ;       Child Loop BB1_9 Depth 3
                                        ;         Child Loop BB1_12 Depth 4
	s_andn2_b64 vcc, exec, s[44:45]
	s_cbranch_vccnz .LBB1_5
; %bb.7:                                ;   in Loop: Header=BB1_6 Depth=2
	v_add_u32_e32 v22, s71, v21
	v_cmp_lt_i32_e64 s[2:3], -1, v22
	v_cmp_gt_i32_e64 s[4:5], s9, v22
	s_mov_b32 s72, 0
	s_branch .LBB1_9
.LBB1_8:                                ;   in Loop: Header=BB1_9 Depth=3
	v_mov_b32_e32 v22, s57
	s_add_i32 s72, s72, 1
	v_add_co_u32_e32 v6, vcc, s56, v6
	s_cmp_eq_u32 s72, s21
	v_addc_co_u32_e32 v7, vcc, v7, v22, vcc
	s_cbranch_scc1 .LBB1_5
.LBB1_9:                                ;   Parent Loop BB1_3 Depth=1
                                        ;     Parent Loop BB1_6 Depth=2
                                        ; =>    This Loop Header: Depth=3
                                        ;         Child Loop BB1_12 Depth 4
	s_andn2_b64 vcc, exec, s[46:47]
	s_cbranch_vccnz .LBB1_8
; %bb.10:                               ;   in Loop: Header=BB1_9 Depth=3
	v_add_u32_e32 v22, s72, v20
	v_cmp_lt_i32_e32 vcc, -1, v22
	s_and_b64 s[60:61], s[2:3], vcc
	v_cmp_gt_i32_e32 vcc, s10, v22
	v_mov_b32_e32 v22, v19
	s_mov_b32 s73, s22
	s_branch .LBB1_12
.LBB1_11:                               ;   in Loop: Header=BB1_12 Depth=4
	s_or_b64 exec, exec, s[6:7]
	v_add_co_u32_e64 v8, s[6:7], 8, v8
	v_addc_co_u32_e64 v9, s[6:7], 0, v9, s[6:7]
	v_add_co_u32_e64 v6, s[6:7], 8, v6
	s_add_i32 s73, s73, -1
	v_addc_co_u32_e64 v7, s[6:7], 0, v7, s[6:7]
	s_cmp_eq_u32 s73, 0
	v_add_u32_e32 v22, 1, v22
	s_cbranch_scc1 .LBB1_8
.LBB1_12:                               ;   Parent Loop BB1_3 Depth=1
                                        ;     Parent Loop BB1_6 Depth=2
                                        ;       Parent Loop BB1_9 Depth=3
                                        ; =>      This Inner Loop Header: Depth=4
	v_cmp_lt_i32_e64 s[6:7], -1, v22
	s_and_b64 s[6:7], s[60:61], s[6:7]
	s_and_b64 s[6:7], s[6:7], s[4:5]
	s_and_b64 s[74:75], s[6:7], vcc
	v_cmp_gt_i32_e64 s[6:7], s11, v22
	s_and_b64 s[74:75], s[74:75], s[6:7]
	s_and_saveexec_b64 s[6:7], s[74:75]
	s_cbranch_execz .LBB1_11
; %bb.13:                               ;   in Loop: Header=BB1_12 Depth=4
	global_load_dwordx2 v[23:24], v[8:9], off
	global_load_dwordx2 v[25:26], v[6:7], off
	s_waitcnt vmcnt(0)
	v_fma_f64 v[4:5], v[23:24], v[25:26], v[4:5]
	s_branch .LBB1_11
.LBB1_14:                               ;   in Loop: Header=BB1_3 Depth=1
	v_mov_b32_e32 v4, 0
	v_mov_b32_e32 v5, 0
.LBB1_15:                               ;   in Loop: Header=BB1_3 Depth=1
	s_and_b64 vcc, exec, s[48:49]
	s_cbranch_vccz .LBB1_2
; %bb.16:                               ;   in Loop: Header=BB1_3 Depth=1
	v_lshlrev_b64 v[6:7], 3, v[2:3]
	v_mov_b32_e32 v3, s39
	v_add_co_u32_e32 v6, vcc, s38, v6
	v_addc_co_u32_e32 v7, vcc, v3, v7, vcc
	global_load_dwordx2 v[6:7], v[6:7], off
	s_waitcnt vmcnt(0)
	v_add_f64 v[4:5], v[4:5], v[6:7]
	s_branch .LBB1_2
.LBB1_17:
	s_endpgm
	.section	.rodata,"a",@progbits
	.p2align	6, 0x0
	.amdhsa_kernel _ZN2at6native12_GLOBAL__N_128conv_depthwise3d_cuda_kernelIddLin1ELin1ELin1ELi1ELi1ELi1EEEvN5torch10headeronly6detail27GenericPackedTensorAccessorINS5_14TensorAccessorIN3c108ArrayRefIlEEKT_Lm4ENS4_16DefaultPtrTraitsEiEENS_6detail16IndexBoundsCheckILm5EiEESC_Lm5ESD_iEENS6_INS7_ISA_SB_Lm4ESD_iEESH_SB_Lm5ESD_iEESI_PSC_iiiiiiiii
		.amdhsa_group_segment_fixed_size 0
		.amdhsa_private_segment_fixed_size 0
		.amdhsa_kernarg_size 448
		.amdhsa_user_sgpr_count 6
		.amdhsa_user_sgpr_private_segment_buffer 1
		.amdhsa_user_sgpr_dispatch_ptr 0
		.amdhsa_user_sgpr_queue_ptr 0
		.amdhsa_user_sgpr_kernarg_segment_ptr 1
		.amdhsa_user_sgpr_dispatch_id 0
		.amdhsa_user_sgpr_flat_scratch_init 0
		.amdhsa_user_sgpr_private_segment_size 0
		.amdhsa_uses_dynamic_stack 0
		.amdhsa_system_sgpr_private_segment_wavefront_offset 0
		.amdhsa_system_sgpr_workgroup_id_x 1
		.amdhsa_system_sgpr_workgroup_id_y 0
		.amdhsa_system_sgpr_workgroup_id_z 0
		.amdhsa_system_sgpr_workgroup_info 0
		.amdhsa_system_vgpr_workitem_id 0
		.amdhsa_next_free_vgpr 27
		.amdhsa_next_free_sgpr 76
		.amdhsa_reserve_vcc 1
		.amdhsa_reserve_flat_scratch 0
		.amdhsa_float_round_mode_32 0
		.amdhsa_float_round_mode_16_64 0
		.amdhsa_float_denorm_mode_32 3
		.amdhsa_float_denorm_mode_16_64 3
		.amdhsa_dx10_clamp 1
		.amdhsa_ieee_mode 1
		.amdhsa_fp16_overflow 0
		.amdhsa_exception_fp_ieee_invalid_op 0
		.amdhsa_exception_fp_denorm_src 0
		.amdhsa_exception_fp_ieee_div_zero 0
		.amdhsa_exception_fp_ieee_overflow 0
		.amdhsa_exception_fp_ieee_underflow 0
		.amdhsa_exception_fp_ieee_inexact 0
		.amdhsa_exception_int_div_zero 0
	.end_amdhsa_kernel
	.section	.text._ZN2at6native12_GLOBAL__N_128conv_depthwise3d_cuda_kernelIddLin1ELin1ELin1ELi1ELi1ELi1EEEvN5torch10headeronly6detail27GenericPackedTensorAccessorINS5_14TensorAccessorIN3c108ArrayRefIlEEKT_Lm4ENS4_16DefaultPtrTraitsEiEENS_6detail16IndexBoundsCheckILm5EiEESC_Lm5ESD_iEENS6_INS7_ISA_SB_Lm4ESD_iEESH_SB_Lm5ESD_iEESI_PSC_iiiiiiiii,"axG",@progbits,_ZN2at6native12_GLOBAL__N_128conv_depthwise3d_cuda_kernelIddLin1ELin1ELin1ELi1ELi1ELi1EEEvN5torch10headeronly6detail27GenericPackedTensorAccessorINS5_14TensorAccessorIN3c108ArrayRefIlEEKT_Lm4ENS4_16DefaultPtrTraitsEiEENS_6detail16IndexBoundsCheckILm5EiEESC_Lm5ESD_iEENS6_INS7_ISA_SB_Lm4ESD_iEESH_SB_Lm5ESD_iEESI_PSC_iiiiiiiii,comdat
.Lfunc_end1:
	.size	_ZN2at6native12_GLOBAL__N_128conv_depthwise3d_cuda_kernelIddLin1ELin1ELin1ELi1ELi1ELi1EEEvN5torch10headeronly6detail27GenericPackedTensorAccessorINS5_14TensorAccessorIN3c108ArrayRefIlEEKT_Lm4ENS4_16DefaultPtrTraitsEiEENS_6detail16IndexBoundsCheckILm5EiEESC_Lm5ESD_iEENS6_INS7_ISA_SB_Lm4ESD_iEESH_SB_Lm5ESD_iEESI_PSC_iiiiiiiii, .Lfunc_end1-_ZN2at6native12_GLOBAL__N_128conv_depthwise3d_cuda_kernelIddLin1ELin1ELin1ELi1ELi1ELi1EEEvN5torch10headeronly6detail27GenericPackedTensorAccessorINS5_14TensorAccessorIN3c108ArrayRefIlEEKT_Lm4ENS4_16DefaultPtrTraitsEiEENS_6detail16IndexBoundsCheckILm5EiEESC_Lm5ESD_iEENS6_INS7_ISA_SB_Lm4ESD_iEESH_SB_Lm5ESD_iEESI_PSC_iiiiiiiii
                                        ; -- End function
	.set _ZN2at6native12_GLOBAL__N_128conv_depthwise3d_cuda_kernelIddLin1ELin1ELin1ELi1ELi1ELi1EEEvN5torch10headeronly6detail27GenericPackedTensorAccessorINS5_14TensorAccessorIN3c108ArrayRefIlEEKT_Lm4ENS4_16DefaultPtrTraitsEiEENS_6detail16IndexBoundsCheckILm5EiEESC_Lm5ESD_iEENS6_INS7_ISA_SB_Lm4ESD_iEESH_SB_Lm5ESD_iEESI_PSC_iiiiiiiii.num_vgpr, 27
	.set _ZN2at6native12_GLOBAL__N_128conv_depthwise3d_cuda_kernelIddLin1ELin1ELin1ELi1ELi1ELi1EEEvN5torch10headeronly6detail27GenericPackedTensorAccessorINS5_14TensorAccessorIN3c108ArrayRefIlEEKT_Lm4ENS4_16DefaultPtrTraitsEiEENS_6detail16IndexBoundsCheckILm5EiEESC_Lm5ESD_iEENS6_INS7_ISA_SB_Lm4ESD_iEESH_SB_Lm5ESD_iEESI_PSC_iiiiiiiii.num_agpr, 0
	.set _ZN2at6native12_GLOBAL__N_128conv_depthwise3d_cuda_kernelIddLin1ELin1ELin1ELi1ELi1ELi1EEEvN5torch10headeronly6detail27GenericPackedTensorAccessorINS5_14TensorAccessorIN3c108ArrayRefIlEEKT_Lm4ENS4_16DefaultPtrTraitsEiEENS_6detail16IndexBoundsCheckILm5EiEESC_Lm5ESD_iEENS6_INS7_ISA_SB_Lm4ESD_iEESH_SB_Lm5ESD_iEESI_PSC_iiiiiiiii.numbered_sgpr, 76
	.set _ZN2at6native12_GLOBAL__N_128conv_depthwise3d_cuda_kernelIddLin1ELin1ELin1ELi1ELi1ELi1EEEvN5torch10headeronly6detail27GenericPackedTensorAccessorINS5_14TensorAccessorIN3c108ArrayRefIlEEKT_Lm4ENS4_16DefaultPtrTraitsEiEENS_6detail16IndexBoundsCheckILm5EiEESC_Lm5ESD_iEENS6_INS7_ISA_SB_Lm4ESD_iEESH_SB_Lm5ESD_iEESI_PSC_iiiiiiiii.num_named_barrier, 0
	.set _ZN2at6native12_GLOBAL__N_128conv_depthwise3d_cuda_kernelIddLin1ELin1ELin1ELi1ELi1ELi1EEEvN5torch10headeronly6detail27GenericPackedTensorAccessorINS5_14TensorAccessorIN3c108ArrayRefIlEEKT_Lm4ENS4_16DefaultPtrTraitsEiEENS_6detail16IndexBoundsCheckILm5EiEESC_Lm5ESD_iEENS6_INS7_ISA_SB_Lm4ESD_iEESH_SB_Lm5ESD_iEESI_PSC_iiiiiiiii.private_seg_size, 0
	.set _ZN2at6native12_GLOBAL__N_128conv_depthwise3d_cuda_kernelIddLin1ELin1ELin1ELi1ELi1ELi1EEEvN5torch10headeronly6detail27GenericPackedTensorAccessorINS5_14TensorAccessorIN3c108ArrayRefIlEEKT_Lm4ENS4_16DefaultPtrTraitsEiEENS_6detail16IndexBoundsCheckILm5EiEESC_Lm5ESD_iEENS6_INS7_ISA_SB_Lm4ESD_iEESH_SB_Lm5ESD_iEESI_PSC_iiiiiiiii.uses_vcc, 1
	.set _ZN2at6native12_GLOBAL__N_128conv_depthwise3d_cuda_kernelIddLin1ELin1ELin1ELi1ELi1ELi1EEEvN5torch10headeronly6detail27GenericPackedTensorAccessorINS5_14TensorAccessorIN3c108ArrayRefIlEEKT_Lm4ENS4_16DefaultPtrTraitsEiEENS_6detail16IndexBoundsCheckILm5EiEESC_Lm5ESD_iEENS6_INS7_ISA_SB_Lm4ESD_iEESH_SB_Lm5ESD_iEESI_PSC_iiiiiiiii.uses_flat_scratch, 0
	.set _ZN2at6native12_GLOBAL__N_128conv_depthwise3d_cuda_kernelIddLin1ELin1ELin1ELi1ELi1ELi1EEEvN5torch10headeronly6detail27GenericPackedTensorAccessorINS5_14TensorAccessorIN3c108ArrayRefIlEEKT_Lm4ENS4_16DefaultPtrTraitsEiEENS_6detail16IndexBoundsCheckILm5EiEESC_Lm5ESD_iEENS6_INS7_ISA_SB_Lm4ESD_iEESH_SB_Lm5ESD_iEESI_PSC_iiiiiiiii.has_dyn_sized_stack, 0
	.set _ZN2at6native12_GLOBAL__N_128conv_depthwise3d_cuda_kernelIddLin1ELin1ELin1ELi1ELi1ELi1EEEvN5torch10headeronly6detail27GenericPackedTensorAccessorINS5_14TensorAccessorIN3c108ArrayRefIlEEKT_Lm4ENS4_16DefaultPtrTraitsEiEENS_6detail16IndexBoundsCheckILm5EiEESC_Lm5ESD_iEENS6_INS7_ISA_SB_Lm4ESD_iEESH_SB_Lm5ESD_iEESI_PSC_iiiiiiiii.has_recursion, 0
	.set _ZN2at6native12_GLOBAL__N_128conv_depthwise3d_cuda_kernelIddLin1ELin1ELin1ELi1ELi1ELi1EEEvN5torch10headeronly6detail27GenericPackedTensorAccessorINS5_14TensorAccessorIN3c108ArrayRefIlEEKT_Lm4ENS4_16DefaultPtrTraitsEiEENS_6detail16IndexBoundsCheckILm5EiEESC_Lm5ESD_iEENS6_INS7_ISA_SB_Lm4ESD_iEESH_SB_Lm5ESD_iEESI_PSC_iiiiiiiii.has_indirect_call, 0
	.section	.AMDGPU.csdata,"",@progbits
; Kernel info:
; codeLenInByte = 1804
; TotalNumSgprs: 80
; NumVgprs: 27
; ScratchSize: 0
; MemoryBound: 1
; FloatMode: 240
; IeeeMode: 1
; LDSByteSize: 0 bytes/workgroup (compile time only)
; SGPRBlocks: 9
; VGPRBlocks: 6
; NumSGPRsForWavesPerEU: 80
; NumVGPRsForWavesPerEU: 27
; Occupancy: 9
; WaveLimiterHint : 0
; COMPUTE_PGM_RSRC2:SCRATCH_EN: 0
; COMPUTE_PGM_RSRC2:USER_SGPR: 6
; COMPUTE_PGM_RSRC2:TRAP_HANDLER: 0
; COMPUTE_PGM_RSRC2:TGID_X_EN: 1
; COMPUTE_PGM_RSRC2:TGID_Y_EN: 0
; COMPUTE_PGM_RSRC2:TGID_Z_EN: 0
; COMPUTE_PGM_RSRC2:TIDIG_COMP_CNT: 0
	.section	.text._ZN2at6native12_GLOBAL__N_128conv_depthwise3d_cuda_kernelIddLin1ELin1ELin1ELin1ELin1ELin1EEEvN5torch10headeronly6detail27GenericPackedTensorAccessorINS5_14TensorAccessorIN3c108ArrayRefIlEEKT_Lm4ENS4_16DefaultPtrTraitsEiEENS_6detail16IndexBoundsCheckILm5EiEESC_Lm5ESD_iEENS6_INS7_ISA_SB_Lm4ESD_iEESH_SB_Lm5ESD_iEESI_PSC_iiiiiiiii,"axG",@progbits,_ZN2at6native12_GLOBAL__N_128conv_depthwise3d_cuda_kernelIddLin1ELin1ELin1ELin1ELin1ELin1EEEvN5torch10headeronly6detail27GenericPackedTensorAccessorINS5_14TensorAccessorIN3c108ArrayRefIlEEKT_Lm4ENS4_16DefaultPtrTraitsEiEENS_6detail16IndexBoundsCheckILm5EiEESC_Lm5ESD_iEENS6_INS7_ISA_SB_Lm4ESD_iEESH_SB_Lm5ESD_iEESI_PSC_iiiiiiiii,comdat
	.globl	_ZN2at6native12_GLOBAL__N_128conv_depthwise3d_cuda_kernelIddLin1ELin1ELin1ELin1ELin1ELin1EEEvN5torch10headeronly6detail27GenericPackedTensorAccessorINS5_14TensorAccessorIN3c108ArrayRefIlEEKT_Lm4ENS4_16DefaultPtrTraitsEiEENS_6detail16IndexBoundsCheckILm5EiEESC_Lm5ESD_iEENS6_INS7_ISA_SB_Lm4ESD_iEESH_SB_Lm5ESD_iEESI_PSC_iiiiiiiii ; -- Begin function _ZN2at6native12_GLOBAL__N_128conv_depthwise3d_cuda_kernelIddLin1ELin1ELin1ELin1ELin1ELin1EEEvN5torch10headeronly6detail27GenericPackedTensorAccessorINS5_14TensorAccessorIN3c108ArrayRefIlEEKT_Lm4ENS4_16DefaultPtrTraitsEiEENS_6detail16IndexBoundsCheckILm5EiEESC_Lm5ESD_iEENS6_INS7_ISA_SB_Lm4ESD_iEESH_SB_Lm5ESD_iEESI_PSC_iiiiiiiii
	.p2align	8
	.type	_ZN2at6native12_GLOBAL__N_128conv_depthwise3d_cuda_kernelIddLin1ELin1ELin1ELin1ELin1ELin1EEEvN5torch10headeronly6detail27GenericPackedTensorAccessorINS5_14TensorAccessorIN3c108ArrayRefIlEEKT_Lm4ENS4_16DefaultPtrTraitsEiEENS_6detail16IndexBoundsCheckILm5EiEESC_Lm5ESD_iEENS6_INS7_ISA_SB_Lm4ESD_iEESH_SB_Lm5ESD_iEESI_PSC_iiiiiiiii,@function
_ZN2at6native12_GLOBAL__N_128conv_depthwise3d_cuda_kernelIddLin1ELin1ELin1ELin1ELin1ELin1EEEvN5torch10headeronly6detail27GenericPackedTensorAccessorINS5_14TensorAccessorIN3c108ArrayRefIlEEKT_Lm4ENS4_16DefaultPtrTraitsEiEENS_6detail16IndexBoundsCheckILm5EiEESC_Lm5ESD_iEENS6_INS7_ISA_SB_Lm4ESD_iEESH_SB_Lm5ESD_iEESI_PSC_iiiiiiiii: ; @_ZN2at6native12_GLOBAL__N_128conv_depthwise3d_cuda_kernelIddLin1ELin1ELin1ELin1ELin1ELin1EEEvN5torch10headeronly6detail27GenericPackedTensorAccessorINS5_14TensorAccessorIN3c108ArrayRefIlEEKT_Lm4ENS4_16DefaultPtrTraitsEiEENS_6detail16IndexBoundsCheckILm5EiEESC_Lm5ESD_iEENS6_INS7_ISA_SB_Lm4ESD_iEESH_SB_Lm5ESD_iEESI_PSC_iiiiiiiii
; %bb.0:
	s_load_dwordx4 s[16:19], s[4:5], 0xc
	s_load_dwordx4 s[20:23], s[4:5], 0x38
	s_load_dwordx2 s[34:35], s[4:5], 0x48
	s_load_dword s1, s[4:5], 0xcc
	v_mov_b32_e32 v1, 0
	v_mov_b32_e32 v3, s6
	s_waitcnt lgkmcnt(0)
	s_abs_i32 s0, s16
	v_cvt_f32_u32_e32 v2, s0
	s_add_u32 s2, s4, 0xc0
	s_addc_u32 s3, s5, 0
	s_and_b32 s36, s1, 0xffff
	v_rcp_iflag_f32_e32 v2, v2
	v_mad_u64_u32 v[0:1], s[6:7], s36, v3, v[0:1]
	s_mul_i32 s6, s35, s20
	v_mul_f32_e32 v2, 0x4f7ffffe, v2
	v_cvt_u32_f32_e32 v2, v2
	s_ashr_i32 s7, s6, 31
	v_cmp_gt_i64_e32 vcc, s[6:7], v[0:1]
	v_readfirstlane_b32 s1, v2
	s_and_saveexec_b64 s[8:9], vcc
	s_cbranch_execz .LBB2_17
; %bb.1:
	s_sub_i32 s8, 0, s0
	s_mul_i32 s8, s8, s1
	s_mul_hi_u32 s8, s1, s8
	s_ashr_i32 s28, s16, 31
	s_abs_i32 s16, s21
	s_add_i32 s1, s1, s8
	s_ashr_i32 s20, s21, 31
	s_mul_hi_u32 s1, s16, s1
	s_load_dwordx2 s[40:41], s[4:5], 0x90
	s_load_dwordx8 s[8:15], s[4:5], 0x98
	s_load_dword s42, s[4:5], 0xb8
	s_load_dwordx4 s[24:27], s[4:5], 0x70
	s_waitcnt lgkmcnt(0)
	s_xor_b32 s27, s20, s28
	s_mul_i32 s28, s1, s0
	s_sub_i32 s28, s16, s28
	s_add_i32 s29, s1, 1
	s_sub_i32 s30, s28, s0
	s_cmp_ge_u32 s28, s0
	s_cselect_b32 s1, s29, s1
	s_cselect_b32 s28, s30, s28
	s_add_i32 s29, s1, 1
	s_cmp_ge_u32 s28, s0
	s_cselect_b32 s0, s29, s1
	s_xor_b32 s0, s0, s27
	s_sub_i32 s37, s0, s27
	s_cmp_gt_i32 s24, 0
	s_cselect_b64 s[44:45], -1, 0
	s_cmp_gt_i32 s25, 0
	s_cselect_b64 s[46:47], -1, 0
	s_cmp_gt_i32 s26, 0
	s_mul_i32 s28, s18, s14
	s_mul_i32 s29, s25, s15
	s_cselect_b64 s[48:49], -1, 0
	s_mul_i32 s0, s19, s15
	s_mul_i32 s1, s26, s42
	s_sub_i32 s28, s28, s29
	s_sub_i32 s0, s0, s1
	s_mul_i32 s38, s28, s19
	s_ashr_i32 s43, s42, 31
	s_ashr_i32 s1, s0, 31
	;; [unrolled: 1-line block ×3, first 2 shown]
	s_cmp_lg_u64 s[40:41], 0
	s_cselect_b64 s[50:51], -1, 0
	s_abs_i32 s33, s34
	v_cvt_f32_u32_e32 v2, s33
	s_abs_i32 s68, s23
	v_cvt_f32_u32_e32 v3, s68
	s_load_dword s2, s[2:3], 0x0
	s_nop 0
	s_load_dwordx2 s[52:53], s[4:5], 0x0
	s_load_dwordx4 s[28:31], s[4:5], 0x1c
	v_rcp_iflag_f32_e32 v2, v2
	s_abs_i32 s71, s22
	v_rcp_iflag_f32_e32 v3, v3
	s_waitcnt lgkmcnt(0)
	s_mul_i32 s70, s2, s36
	v_mul_f32_e32 v2, 0x4f7ffffe, v2
	v_cvt_u32_f32_e32 v2, v2
	s_sub_i32 s2, 0, s33
	v_mul_f32_e32 v3, 0x4f7ffffe, v3
	v_cvt_f32_u32_e32 v5, s71
	v_mul_lo_u32 v4, s2, v2
	v_cvt_u32_f32_e32 v3, v3
	s_sub_i32 s2, 0, s68
	v_rcp_iflag_f32_e32 v5, v5
	v_mul_hi_u32 v4, v2, v4
	v_mul_lo_u32 v6, s2, v3
	s_abs_i32 s73, s37
	s_sub_i32 s2, 0, s71
	v_add_u32_e32 v10, v2, v4
	v_mul_f32_e32 v4, 0x4f7ffffe, v5
	v_cvt_f32_u32_e32 v5, s16
	v_mul_hi_u32 v2, v3, v6
	v_cvt_f32_u32_e32 v6, s73
	v_cvt_u32_f32_e32 v4, v4
	v_rcp_iflag_f32_e32 v5, v5
	s_load_dword s27, s[4:5], 0x7c
	v_rcp_iflag_f32_e32 v6, v6
	v_mul_lo_u32 v7, s2, v4
	v_mul_f32_e32 v5, 0x4f7ffffe, v5
	v_cvt_u32_f32_e32 v5, v5
	v_mul_f32_e32 v6, 0x4f7ffffe, v6
	v_cvt_u32_f32_e32 v6, v6
	s_sub_i32 s2, 0, s16
	v_mul_lo_u32 v8, s2, v5
	s_sub_i32 s2, 0, s73
	v_mul_lo_u32 v9, s2, v6
	s_load_dword s69, s[4:5], 0x2c
	s_load_dwordx2 s[54:55], s[4:5], 0x30
	v_add_u32_e32 v11, v3, v2
	v_mul_hi_u32 v2, v4, v7
	v_mul_hi_u32 v3, v5, v8
	;; [unrolled: 1-line block ×3, first 2 shown]
	s_ashr_i32 s76, s37, 31
	s_lshl_b64 s[58:59], s[38:39], 3
	s_load_dwordx2 s[60:61], s[4:5], 0x60
	s_load_dwordx4 s[36:39], s[4:5], 0x50
	s_ashr_i32 s72, s34, 31
	s_ashr_i32 s74, s23, 31
	;; [unrolled: 1-line block ×3, first 2 shown]
	v_add_u32_e32 v12, v4, v2
	v_add_u32_e32 v13, v5, v3
	;; [unrolled: 1-line block ×3, first 2 shown]
	s_lshl_b64 s[56:57], s[0:1], 3
	s_mov_b64 s[62:63], 0
	s_lshl_b64 s[64:65], s[42:43], 3
	s_branch .LBB2_3
.LBB2_2:                                ;   in Loop: Header=BB2_3 Depth=1
	v_mul_lo_u32 v6, v18, s35
	s_waitcnt lgkmcnt(0)
	v_mul_lo_u32 v2, s36, v2
	v_mov_b32_e32 v3, s55
	v_ashrrev_i32_e32 v7, 31, v6
	v_lshlrev_b64 v[6:7], 3, v[6:7]
	v_add_co_u32_e32 v8, vcc, s54, v6
	v_addc_co_u32_e32 v7, vcc, v3, v7, vcc
	v_ashrrev_i32_e32 v3, 31, v2
	v_mul_lo_u32 v6, s37, v17
	v_lshlrev_b64 v[2:3], 3, v[2:3]
	v_add_co_u32_e32 v8, vcc, v8, v2
	v_addc_co_u32_e32 v9, vcc, v7, v3, vcc
	v_ashrrev_i32_e32 v7, 31, v6
	v_lshlrev_b64 v[2:3], 3, v[6:7]
	v_mul_lo_u32 v6, s38, v16
	v_add_co_u32_e32 v8, vcc, v8, v2
	v_addc_co_u32_e32 v9, vcc, v9, v3, vcc
	v_ashrrev_i32_e32 v7, 31, v6
	v_lshlrev_b64 v[2:3], 3, v[6:7]
	v_mul_lo_u32 v6, s39, v15
	v_add_co_u32_e32 v8, vcc, v8, v2
	v_addc_co_u32_e32 v9, vcc, v9, v3, vcc
	v_ashrrev_i32_e32 v7, 31, v6
	v_add_co_u32_e32 v0, vcc, s70, v0
	v_lshlrev_b64 v[2:3], 3, v[6:7]
	v_addc_co_u32_e32 v1, vcc, 0, v1, vcc
	v_cmp_le_i64_e32 vcc, s[6:7], v[0:1]
	v_add_co_u32_e64 v2, s[0:1], v8, v2
	v_addc_co_u32_e64 v3, s[0:1], v9, v3, s[0:1]
	s_or_b64 s[62:63], vcc, s[62:63]
	global_store_dwordx2 v[2:3], v[4:5], off
	s_andn2_b64 exec, exec, s[62:63]
	s_cbranch_execz .LBB2_17
.LBB2_3:                                ; =>This Loop Header: Depth=1
                                        ;     Child Loop BB2_6 Depth 2
                                        ;       Child Loop BB2_9 Depth 3
                                        ;         Child Loop BB2_12 Depth 4
	v_sub_u32_e32 v2, 0, v0
	v_max_i32_e32 v2, v0, v2
	v_mul_hi_u32 v3, v2, v10
	v_ashrrev_i32_e32 v5, 31, v0
	v_xor_b32_e32 v5, s72, v5
	v_mul_lo_u32 v4, v3, s33
	v_add_u32_e32 v6, 1, v3
	v_sub_u32_e32 v2, v2, v4
	v_cmp_le_u32_e32 vcc, s33, v2
	v_subrev_u32_e32 v4, s33, v2
	v_cndmask_b32_e32 v3, v3, v6, vcc
	v_cndmask_b32_e32 v2, v2, v4, vcc
	v_add_u32_e32 v4, 1, v3
	v_cmp_le_u32_e32 vcc, s33, v2
	v_cndmask_b32_e32 v2, v3, v4, vcc
	v_xor_b32_e32 v2, v2, v5
	v_sub_u32_e32 v2, v2, v5
	v_sub_u32_e32 v3, 0, v2
	v_max_i32_e32 v3, v2, v3
	v_mul_hi_u32 v4, v3, v11
	v_ashrrev_i32_e32 v6, 31, v2
	v_xor_b32_e32 v6, s74, v6
	v_mul_lo_u32 v5, v4, s68
	v_add_u32_e32 v7, 1, v4
	v_sub_u32_e32 v3, v3, v5
	v_cmp_le_u32_e32 vcc, s68, v3
	v_subrev_u32_e32 v5, s68, v3
	v_cndmask_b32_e32 v4, v4, v7, vcc
	v_cndmask_b32_e32 v3, v3, v5, vcc
	v_add_u32_e32 v5, 1, v4
	v_cmp_le_u32_e32 vcc, s68, v3
	v_cndmask_b32_e32 v3, v4, v5, vcc
	v_xor_b32_e32 v3, v3, v6
	v_sub_u32_e32 v3, v3, v6
	;; [unrolled: 17-line block ×3, first 2 shown]
	v_sub_u32_e32 v5, 0, v4
	v_max_i32_e32 v5, v4, v5
	v_mul_hi_u32 v6, v5, v13
	v_ashrrev_i32_e32 v15, 31, v4
	v_xor_b32_e32 v15, s20, v15
	v_mul_lo_u32 v8, v3, s23
	v_mul_lo_u32 v9, v6, s16
	;; [unrolled: 1-line block ×4, first 2 shown]
	v_sub_u32_e32 v16, v2, v8
	v_sub_u32_e32 v5, v5, v9
	v_add_u32_e32 v9, 1, v6
	v_cmp_le_u32_e32 vcc, s16, v5
	v_cndmask_b32_e32 v6, v6, v9, vcc
	v_subrev_u32_e32 v9, s16, v5
	v_cndmask_b32_e32 v5, v5, v9, vcc
	v_add_u32_e32 v9, 1, v6
	v_cmp_le_u32_e32 vcc, s16, v5
	v_cndmask_b32_e32 v5, v6, v9, vcc
	v_xor_b32_e32 v5, v5, v15
	v_sub_u32_e32 v18, v5, v15
	v_mul_lo_u32 v5, v18, s21
	v_sub_u32_e32 v15, v0, v7
	v_sub_u32_e32 v17, v3, v17
	s_andn2_b64 vcc, exec, s[44:45]
	v_sub_u32_e32 v2, v4, v5
	v_ashrrev_i32_e32 v3, 31, v2
	s_cbranch_vccnz .LBB2_14
; %bb.4:                                ;   in Loop: Header=BB2_3 Depth=1
	v_mul_lo_u32 v5, v15, s10
	v_mul_lo_u32 v6, v16, s9
	;; [unrolled: 1-line block ×3, first 2 shown]
	v_xor_b32_e32 v22, s76, v3
	v_subrev_u32_e32 v19, s13, v5
	v_sub_u32_e32 v5, 0, v2
	v_max_i32_e32 v8, v2, v5
	v_mul_hi_u32 v9, v8, v14
	v_subrev_u32_e32 v20, s12, v6
	v_mul_lo_u32 v7, v17, s8
	v_ashrrev_i32_e32 v5, 31, v4
	v_mul_lo_u32 v6, v9, s73
	v_lshlrev_b64 v[4:5], 3, v[4:5]
	v_subrev_u32_e32 v21, s11, v7
	v_mov_b32_e32 v7, s53
	v_sub_u32_e32 v6, v8, v6
	v_add_u32_e32 v8, 1, v9
	v_cmp_le_u32_e32 vcc, s73, v6
	v_cndmask_b32_e32 v8, v9, v8, vcc
	v_subrev_u32_e32 v9, s73, v6
	v_cndmask_b32_e32 v6, v6, v9, vcc
	v_add_u32_e32 v9, 1, v8
	v_cmp_le_u32_e32 vcc, s73, v6
	v_cndmask_b32_e32 v6, v8, v9, vcc
	v_xor_b32_e32 v6, v6, v22
	v_sub_u32_e32 v6, v6, v22
	v_mul_lo_u32 v6, s29, v6
	v_add_co_u32_e32 v8, vcc, s52, v4
	v_addc_co_u32_e32 v9, vcc, v7, v5, vcc
	v_ashrrev_i32_e32 v7, 31, v6
	v_lshlrev_b64 v[4:5], 3, v[6:7]
	v_mul_lo_u32 v6, s30, v21
	v_add_co_u32_e32 v8, vcc, v8, v4
	v_addc_co_u32_e32 v9, vcc, v9, v5, vcc
	v_ashrrev_i32_e32 v7, 31, v6
	v_lshlrev_b64 v[4:5], 3, v[6:7]
	;; [unrolled: 5-line block ×3, first 2 shown]
	s_waitcnt lgkmcnt(0)
	v_mul_lo_u32 v6, s69, v19
	v_add_co_u32_e32 v22, vcc, v8, v4
	v_mul_lo_u32 v8, s27, v2
	v_ashrrev_i32_e32 v7, 31, v6
	v_addc_co_u32_e32 v9, vcc, v9, v5, vcc
	v_lshlrev_b64 v[4:5], 3, v[6:7]
	s_mov_b32 s43, 0
	v_add_co_u32_e32 v6, vcc, v22, v4
	v_addc_co_u32_e32 v7, vcc, v9, v5, vcc
	v_ashrrev_i32_e32 v9, 31, v8
	v_lshlrev_b64 v[8:9], 3, v[8:9]
	v_mov_b32_e32 v22, s61
	v_mov_b32_e32 v4, 0
	v_add_co_u32_e32 v8, vcc, s60, v8
	v_mov_b32_e32 v5, 0
	v_addc_co_u32_e32 v9, vcc, v22, v9, vcc
	s_branch .LBB2_6
.LBB2_5:                                ;   in Loop: Header=BB2_6 Depth=2
	v_mov_b32_e32 v22, s59
	s_add_i32 s43, s43, 1
	v_add_co_u32_e32 v6, vcc, s58, v6
	s_cmp_eq_u32 s43, s24
	v_addc_co_u32_e32 v7, vcc, v7, v22, vcc
	s_cbranch_scc1 .LBB2_15
.LBB2_6:                                ;   Parent Loop BB2_3 Depth=1
                                        ; =>  This Loop Header: Depth=2
                                        ;       Child Loop BB2_9 Depth 3
                                        ;         Child Loop BB2_12 Depth 4
	s_andn2_b64 vcc, exec, s[46:47]
	s_cbranch_vccnz .LBB2_5
; %bb.7:                                ;   in Loop: Header=BB2_6 Depth=2
	s_mul_i32 s0, s43, s14
	v_add_u32_e32 v22, s0, v21
	v_cmp_lt_i32_e64 s[0:1], -1, v22
	v_cmp_gt_i32_e64 s[2:3], s17, v22
	s_mov_b32 s77, 0
	s_branch .LBB2_9
.LBB2_8:                                ;   in Loop: Header=BB2_9 Depth=3
	v_mov_b32_e32 v22, s57
	s_add_i32 s77, s77, 1
	v_add_co_u32_e32 v6, vcc, s56, v6
	s_cmp_eq_u32 s77, s25
	v_addc_co_u32_e32 v7, vcc, v7, v22, vcc
	s_cbranch_scc1 .LBB2_5
.LBB2_9:                                ;   Parent Loop BB2_3 Depth=1
                                        ;     Parent Loop BB2_6 Depth=2
                                        ; =>    This Loop Header: Depth=3
                                        ;         Child Loop BB2_12 Depth 4
	s_andn2_b64 vcc, exec, s[48:49]
	s_cbranch_vccnz .LBB2_8
; %bb.10:                               ;   in Loop: Header=BB2_9 Depth=3
	s_mul_i32 s4, s77, s15
	v_add_u32_e32 v22, s4, v20
	v_cmp_lt_i32_e32 vcc, -1, v22
	s_and_b64 s[66:67], s[0:1], vcc
	v_cmp_gt_i32_e32 vcc, s18, v22
	v_mov_b32_e32 v22, v19
	s_mov_b32 s78, s26
	s_branch .LBB2_12
.LBB2_11:                               ;   in Loop: Header=BB2_12 Depth=4
	s_or_b64 exec, exec, s[4:5]
	v_add_co_u32_e64 v8, s[4:5], 8, v8
	v_addc_co_u32_e64 v9, s[4:5], 0, v9, s[4:5]
	s_add_i32 s78, s78, -1
	v_mov_b32_e32 v23, s65
	v_add_co_u32_e64 v6, s[4:5], s64, v6
	v_add_u32_e32 v22, s42, v22
	s_cmp_eq_u32 s78, 0
	v_addc_co_u32_e64 v7, s[4:5], v7, v23, s[4:5]
	s_cbranch_scc1 .LBB2_8
.LBB2_12:                               ;   Parent Loop BB2_3 Depth=1
                                        ;     Parent Loop BB2_6 Depth=2
                                        ;       Parent Loop BB2_9 Depth=3
                                        ; =>      This Inner Loop Header: Depth=4
	v_cmp_lt_i32_e64 s[4:5], -1, v22
	s_and_b64 s[4:5], s[66:67], s[4:5]
	s_and_b64 s[4:5], s[4:5], s[2:3]
	s_and_b64 s[80:81], s[4:5], vcc
	v_cmp_gt_i32_e64 s[4:5], s19, v22
	s_and_b64 s[80:81], s[80:81], s[4:5]
	s_and_saveexec_b64 s[4:5], s[80:81]
	s_cbranch_execz .LBB2_11
; %bb.13:                               ;   in Loop: Header=BB2_12 Depth=4
	global_load_dwordx2 v[23:24], v[8:9], off
	global_load_dwordx2 v[25:26], v[6:7], off
	s_waitcnt vmcnt(0)
	v_fma_f64 v[4:5], v[23:24], v[25:26], v[4:5]
	s_branch .LBB2_11
.LBB2_14:                               ;   in Loop: Header=BB2_3 Depth=1
	v_mov_b32_e32 v4, 0
	v_mov_b32_e32 v5, 0
.LBB2_15:                               ;   in Loop: Header=BB2_3 Depth=1
	s_and_b64 vcc, exec, s[50:51]
	s_cbranch_vccz .LBB2_2
; %bb.16:                               ;   in Loop: Header=BB2_3 Depth=1
	v_lshlrev_b64 v[6:7], 3, v[2:3]
	v_mov_b32_e32 v3, s41
	v_add_co_u32_e32 v6, vcc, s40, v6
	v_addc_co_u32_e32 v7, vcc, v3, v7, vcc
	global_load_dwordx2 v[6:7], v[6:7], off
	s_waitcnt vmcnt(0)
	v_add_f64 v[4:5], v[4:5], v[6:7]
	s_branch .LBB2_2
.LBB2_17:
	s_endpgm
	.section	.rodata,"a",@progbits
	.p2align	6, 0x0
	.amdhsa_kernel _ZN2at6native12_GLOBAL__N_128conv_depthwise3d_cuda_kernelIddLin1ELin1ELin1ELin1ELin1ELin1EEEvN5torch10headeronly6detail27GenericPackedTensorAccessorINS5_14TensorAccessorIN3c108ArrayRefIlEEKT_Lm4ENS4_16DefaultPtrTraitsEiEENS_6detail16IndexBoundsCheckILm5EiEESC_Lm5ESD_iEENS6_INS7_ISA_SB_Lm4ESD_iEESH_SB_Lm5ESD_iEESI_PSC_iiiiiiiii
		.amdhsa_group_segment_fixed_size 0
		.amdhsa_private_segment_fixed_size 0
		.amdhsa_kernarg_size 448
		.amdhsa_user_sgpr_count 6
		.amdhsa_user_sgpr_private_segment_buffer 1
		.amdhsa_user_sgpr_dispatch_ptr 0
		.amdhsa_user_sgpr_queue_ptr 0
		.amdhsa_user_sgpr_kernarg_segment_ptr 1
		.amdhsa_user_sgpr_dispatch_id 0
		.amdhsa_user_sgpr_flat_scratch_init 0
		.amdhsa_user_sgpr_private_segment_size 0
		.amdhsa_uses_dynamic_stack 0
		.amdhsa_system_sgpr_private_segment_wavefront_offset 0
		.amdhsa_system_sgpr_workgroup_id_x 1
		.amdhsa_system_sgpr_workgroup_id_y 0
		.amdhsa_system_sgpr_workgroup_id_z 0
		.amdhsa_system_sgpr_workgroup_info 0
		.amdhsa_system_vgpr_workitem_id 0
		.amdhsa_next_free_vgpr 27
		.amdhsa_next_free_sgpr 82
		.amdhsa_reserve_vcc 1
		.amdhsa_reserve_flat_scratch 0
		.amdhsa_float_round_mode_32 0
		.amdhsa_float_round_mode_16_64 0
		.amdhsa_float_denorm_mode_32 3
		.amdhsa_float_denorm_mode_16_64 3
		.amdhsa_dx10_clamp 1
		.amdhsa_ieee_mode 1
		.amdhsa_fp16_overflow 0
		.amdhsa_exception_fp_ieee_invalid_op 0
		.amdhsa_exception_fp_denorm_src 0
		.amdhsa_exception_fp_ieee_div_zero 0
		.amdhsa_exception_fp_ieee_overflow 0
		.amdhsa_exception_fp_ieee_underflow 0
		.amdhsa_exception_fp_ieee_inexact 0
		.amdhsa_exception_int_div_zero 0
	.end_amdhsa_kernel
	.section	.text._ZN2at6native12_GLOBAL__N_128conv_depthwise3d_cuda_kernelIddLin1ELin1ELin1ELin1ELin1ELin1EEEvN5torch10headeronly6detail27GenericPackedTensorAccessorINS5_14TensorAccessorIN3c108ArrayRefIlEEKT_Lm4ENS4_16DefaultPtrTraitsEiEENS_6detail16IndexBoundsCheckILm5EiEESC_Lm5ESD_iEENS6_INS7_ISA_SB_Lm4ESD_iEESH_SB_Lm5ESD_iEESI_PSC_iiiiiiiii,"axG",@progbits,_ZN2at6native12_GLOBAL__N_128conv_depthwise3d_cuda_kernelIddLin1ELin1ELin1ELin1ELin1ELin1EEEvN5torch10headeronly6detail27GenericPackedTensorAccessorINS5_14TensorAccessorIN3c108ArrayRefIlEEKT_Lm4ENS4_16DefaultPtrTraitsEiEENS_6detail16IndexBoundsCheckILm5EiEESC_Lm5ESD_iEENS6_INS7_ISA_SB_Lm4ESD_iEESH_SB_Lm5ESD_iEESI_PSC_iiiiiiiii,comdat
.Lfunc_end2:
	.size	_ZN2at6native12_GLOBAL__N_128conv_depthwise3d_cuda_kernelIddLin1ELin1ELin1ELin1ELin1ELin1EEEvN5torch10headeronly6detail27GenericPackedTensorAccessorINS5_14TensorAccessorIN3c108ArrayRefIlEEKT_Lm4ENS4_16DefaultPtrTraitsEiEENS_6detail16IndexBoundsCheckILm5EiEESC_Lm5ESD_iEENS6_INS7_ISA_SB_Lm4ESD_iEESH_SB_Lm5ESD_iEESI_PSC_iiiiiiiii, .Lfunc_end2-_ZN2at6native12_GLOBAL__N_128conv_depthwise3d_cuda_kernelIddLin1ELin1ELin1ELin1ELin1ELin1EEEvN5torch10headeronly6detail27GenericPackedTensorAccessorINS5_14TensorAccessorIN3c108ArrayRefIlEEKT_Lm4ENS4_16DefaultPtrTraitsEiEENS_6detail16IndexBoundsCheckILm5EiEESC_Lm5ESD_iEENS6_INS7_ISA_SB_Lm4ESD_iEESH_SB_Lm5ESD_iEESI_PSC_iiiiiiiii
                                        ; -- End function
	.set _ZN2at6native12_GLOBAL__N_128conv_depthwise3d_cuda_kernelIddLin1ELin1ELin1ELin1ELin1ELin1EEEvN5torch10headeronly6detail27GenericPackedTensorAccessorINS5_14TensorAccessorIN3c108ArrayRefIlEEKT_Lm4ENS4_16DefaultPtrTraitsEiEENS_6detail16IndexBoundsCheckILm5EiEESC_Lm5ESD_iEENS6_INS7_ISA_SB_Lm4ESD_iEESH_SB_Lm5ESD_iEESI_PSC_iiiiiiiii.num_vgpr, 27
	.set _ZN2at6native12_GLOBAL__N_128conv_depthwise3d_cuda_kernelIddLin1ELin1ELin1ELin1ELin1ELin1EEEvN5torch10headeronly6detail27GenericPackedTensorAccessorINS5_14TensorAccessorIN3c108ArrayRefIlEEKT_Lm4ENS4_16DefaultPtrTraitsEiEENS_6detail16IndexBoundsCheckILm5EiEESC_Lm5ESD_iEENS6_INS7_ISA_SB_Lm4ESD_iEESH_SB_Lm5ESD_iEESI_PSC_iiiiiiiii.num_agpr, 0
	.set _ZN2at6native12_GLOBAL__N_128conv_depthwise3d_cuda_kernelIddLin1ELin1ELin1ELin1ELin1ELin1EEEvN5torch10headeronly6detail27GenericPackedTensorAccessorINS5_14TensorAccessorIN3c108ArrayRefIlEEKT_Lm4ENS4_16DefaultPtrTraitsEiEENS_6detail16IndexBoundsCheckILm5EiEESC_Lm5ESD_iEENS6_INS7_ISA_SB_Lm4ESD_iEESH_SB_Lm5ESD_iEESI_PSC_iiiiiiiii.numbered_sgpr, 82
	.set _ZN2at6native12_GLOBAL__N_128conv_depthwise3d_cuda_kernelIddLin1ELin1ELin1ELin1ELin1ELin1EEEvN5torch10headeronly6detail27GenericPackedTensorAccessorINS5_14TensorAccessorIN3c108ArrayRefIlEEKT_Lm4ENS4_16DefaultPtrTraitsEiEENS_6detail16IndexBoundsCheckILm5EiEESC_Lm5ESD_iEENS6_INS7_ISA_SB_Lm4ESD_iEESH_SB_Lm5ESD_iEESI_PSC_iiiiiiiii.num_named_barrier, 0
	.set _ZN2at6native12_GLOBAL__N_128conv_depthwise3d_cuda_kernelIddLin1ELin1ELin1ELin1ELin1ELin1EEEvN5torch10headeronly6detail27GenericPackedTensorAccessorINS5_14TensorAccessorIN3c108ArrayRefIlEEKT_Lm4ENS4_16DefaultPtrTraitsEiEENS_6detail16IndexBoundsCheckILm5EiEESC_Lm5ESD_iEENS6_INS7_ISA_SB_Lm4ESD_iEESH_SB_Lm5ESD_iEESI_PSC_iiiiiiiii.private_seg_size, 0
	.set _ZN2at6native12_GLOBAL__N_128conv_depthwise3d_cuda_kernelIddLin1ELin1ELin1ELin1ELin1ELin1EEEvN5torch10headeronly6detail27GenericPackedTensorAccessorINS5_14TensorAccessorIN3c108ArrayRefIlEEKT_Lm4ENS4_16DefaultPtrTraitsEiEENS_6detail16IndexBoundsCheckILm5EiEESC_Lm5ESD_iEENS6_INS7_ISA_SB_Lm4ESD_iEESH_SB_Lm5ESD_iEESI_PSC_iiiiiiiii.uses_vcc, 1
	.set _ZN2at6native12_GLOBAL__N_128conv_depthwise3d_cuda_kernelIddLin1ELin1ELin1ELin1ELin1ELin1EEEvN5torch10headeronly6detail27GenericPackedTensorAccessorINS5_14TensorAccessorIN3c108ArrayRefIlEEKT_Lm4ENS4_16DefaultPtrTraitsEiEENS_6detail16IndexBoundsCheckILm5EiEESC_Lm5ESD_iEENS6_INS7_ISA_SB_Lm4ESD_iEESH_SB_Lm5ESD_iEESI_PSC_iiiiiiiii.uses_flat_scratch, 0
	.set _ZN2at6native12_GLOBAL__N_128conv_depthwise3d_cuda_kernelIddLin1ELin1ELin1ELin1ELin1ELin1EEEvN5torch10headeronly6detail27GenericPackedTensorAccessorINS5_14TensorAccessorIN3c108ArrayRefIlEEKT_Lm4ENS4_16DefaultPtrTraitsEiEENS_6detail16IndexBoundsCheckILm5EiEESC_Lm5ESD_iEENS6_INS7_ISA_SB_Lm4ESD_iEESH_SB_Lm5ESD_iEESI_PSC_iiiiiiiii.has_dyn_sized_stack, 0
	.set _ZN2at6native12_GLOBAL__N_128conv_depthwise3d_cuda_kernelIddLin1ELin1ELin1ELin1ELin1ELin1EEEvN5torch10headeronly6detail27GenericPackedTensorAccessorINS5_14TensorAccessorIN3c108ArrayRefIlEEKT_Lm4ENS4_16DefaultPtrTraitsEiEENS_6detail16IndexBoundsCheckILm5EiEESC_Lm5ESD_iEENS6_INS7_ISA_SB_Lm4ESD_iEESH_SB_Lm5ESD_iEESI_PSC_iiiiiiiii.has_recursion, 0
	.set _ZN2at6native12_GLOBAL__N_128conv_depthwise3d_cuda_kernelIddLin1ELin1ELin1ELin1ELin1ELin1EEEvN5torch10headeronly6detail27GenericPackedTensorAccessorINS5_14TensorAccessorIN3c108ArrayRefIlEEKT_Lm4ENS4_16DefaultPtrTraitsEiEENS_6detail16IndexBoundsCheckILm5EiEESC_Lm5ESD_iEENS6_INS7_ISA_SB_Lm4ESD_iEESH_SB_Lm5ESD_iEESI_PSC_iiiiiiiii.has_indirect_call, 0
	.section	.AMDGPU.csdata,"",@progbits
; Kernel info:
; codeLenInByte = 1836
; TotalNumSgprs: 86
; NumVgprs: 27
; ScratchSize: 0
; MemoryBound: 1
; FloatMode: 240
; IeeeMode: 1
; LDSByteSize: 0 bytes/workgroup (compile time only)
; SGPRBlocks: 10
; VGPRBlocks: 6
; NumSGPRsForWavesPerEU: 86
; NumVGPRsForWavesPerEU: 27
; Occupancy: 9
; WaveLimiterHint : 0
; COMPUTE_PGM_RSRC2:SCRATCH_EN: 0
; COMPUTE_PGM_RSRC2:USER_SGPR: 6
; COMPUTE_PGM_RSRC2:TRAP_HANDLER: 0
; COMPUTE_PGM_RSRC2:TGID_X_EN: 1
; COMPUTE_PGM_RSRC2:TGID_Y_EN: 0
; COMPUTE_PGM_RSRC2:TGID_Z_EN: 0
; COMPUTE_PGM_RSRC2:TIDIG_COMP_CNT: 0
	.section	.text._ZN2at6native12_GLOBAL__N_128conv_depthwise3d_cuda_kernelIffLi3ELi3ELi3ELi1ELi1ELi1EEEvN5torch10headeronly6detail27GenericPackedTensorAccessorINS5_14TensorAccessorIN3c108ArrayRefIlEEKT_Lm4ENS4_16DefaultPtrTraitsEiEENS_6detail16IndexBoundsCheckILm5EiEESC_Lm5ESD_iEENS6_INS7_ISA_SB_Lm4ESD_iEESH_SB_Lm5ESD_iEESI_PSC_iiiiiiiii,"axG",@progbits,_ZN2at6native12_GLOBAL__N_128conv_depthwise3d_cuda_kernelIffLi3ELi3ELi3ELi1ELi1ELi1EEEvN5torch10headeronly6detail27GenericPackedTensorAccessorINS5_14TensorAccessorIN3c108ArrayRefIlEEKT_Lm4ENS4_16DefaultPtrTraitsEiEENS_6detail16IndexBoundsCheckILm5EiEESC_Lm5ESD_iEENS6_INS7_ISA_SB_Lm4ESD_iEESH_SB_Lm5ESD_iEESI_PSC_iiiiiiiii,comdat
	.globl	_ZN2at6native12_GLOBAL__N_128conv_depthwise3d_cuda_kernelIffLi3ELi3ELi3ELi1ELi1ELi1EEEvN5torch10headeronly6detail27GenericPackedTensorAccessorINS5_14TensorAccessorIN3c108ArrayRefIlEEKT_Lm4ENS4_16DefaultPtrTraitsEiEENS_6detail16IndexBoundsCheckILm5EiEESC_Lm5ESD_iEENS6_INS7_ISA_SB_Lm4ESD_iEESH_SB_Lm5ESD_iEESI_PSC_iiiiiiiii ; -- Begin function _ZN2at6native12_GLOBAL__N_128conv_depthwise3d_cuda_kernelIffLi3ELi3ELi3ELi1ELi1ELi1EEEvN5torch10headeronly6detail27GenericPackedTensorAccessorINS5_14TensorAccessorIN3c108ArrayRefIlEEKT_Lm4ENS4_16DefaultPtrTraitsEiEENS_6detail16IndexBoundsCheckILm5EiEESC_Lm5ESD_iEENS6_INS7_ISA_SB_Lm4ESD_iEESH_SB_Lm5ESD_iEESI_PSC_iiiiiiiii
	.p2align	8
	.type	_ZN2at6native12_GLOBAL__N_128conv_depthwise3d_cuda_kernelIffLi3ELi3ELi3ELi1ELi1ELi1EEEvN5torch10headeronly6detail27GenericPackedTensorAccessorINS5_14TensorAccessorIN3c108ArrayRefIlEEKT_Lm4ENS4_16DefaultPtrTraitsEiEENS_6detail16IndexBoundsCheckILm5EiEESC_Lm5ESD_iEENS6_INS7_ISA_SB_Lm4ESD_iEESH_SB_Lm5ESD_iEESI_PSC_iiiiiiiii,@function
_ZN2at6native12_GLOBAL__N_128conv_depthwise3d_cuda_kernelIffLi3ELi3ELi3ELi1ELi1ELi1EEEvN5torch10headeronly6detail27GenericPackedTensorAccessorINS5_14TensorAccessorIN3c108ArrayRefIlEEKT_Lm4ENS4_16DefaultPtrTraitsEiEENS_6detail16IndexBoundsCheckILm5EiEESC_Lm5ESD_iEENS6_INS7_ISA_SB_Lm4ESD_iEESH_SB_Lm5ESD_iEESI_PSC_iiiiiiiii: ; @_ZN2at6native12_GLOBAL__N_128conv_depthwise3d_cuda_kernelIffLi3ELi3ELi3ELi1ELi1ELi1EEEvN5torch10headeronly6detail27GenericPackedTensorAccessorINS5_14TensorAccessorIN3c108ArrayRefIlEEKT_Lm4ENS4_16DefaultPtrTraitsEiEENS_6detail16IndexBoundsCheckILm5EiEESC_Lm5ESD_iEENS6_INS7_ISA_SB_Lm4ESD_iEESH_SB_Lm5ESD_iEESI_PSC_iiiiiiiii
; %bb.0:
	s_load_dwordx4 s[28:31], s[4:5], 0xc
	s_load_dwordx4 s[36:39], s[4:5], 0x38
	s_load_dwordx2 s[34:35], s[4:5], 0x48
	s_load_dword s2, s[4:5], 0xcc
	v_mov_b32_e32 v7, 0
	s_waitcnt lgkmcnt(0)
	s_abs_i32 s3, s28
	v_cvt_f32_u32_e32 v1, s3
	s_add_u32 s0, s4, 0xc0
	s_addc_u32 s1, s5, 0
	s_and_b32 s2, s2, 0xffff
	v_rcp_iflag_f32_e32 v1, v1
	s_mul_i32 s52, s35, s36
	s_mul_hi_u32 s33, s2, s6
	s_mul_i32 s36, s2, s6
	v_mul_f32_e32 v1, 0x4f7ffffe, v1
	v_cvt_u32_f32_e32 v1, v1
	v_mov_b32_e32 v2, s33
	s_ashr_i32 s53, s52, 31
	v_readfirstlane_b32 s6, v1
	v_add_co_u32_e32 v1, vcc, s36, v0
	v_addc_co_u32_e32 v2, vcc, 0, v2, vcc
	v_cmp_gt_i64_e32 vcc, s[52:53], v[1:2]
	s_and_saveexec_b64 s[8:9], vcc
	s_cbranch_execz .LBB3_59
; %bb.1:
	s_sub_i32 s8, 0, s3
	s_mul_i32 s8, s8, s6
	s_mul_hi_u32 s8, s6, s8
	s_ashr_i32 s7, s28, 31
	s_abs_i32 s28, s37
	s_add_i32 s6, s6, s8
	s_mul_hi_u32 s6, s28, s6
	s_mul_i32 s8, s6, s3
	s_ashr_i32 s74, s37, 31
	s_sub_i32 s8, s28, s8
	s_xor_b32 s7, s74, s7
	s_add_i32 s9, s6, 1
	s_sub_i32 s10, s8, s3
	s_cmp_ge_u32 s8, s3
	s_cselect_b32 s6, s9, s6
	s_cselect_b32 s8, s10, s8
	s_add_i32 s9, s6, 1
	s_cmp_ge_u32 s8, s3
	s_cselect_b32 s3, s9, s6
	s_add_i32 s6, s30, -3
	s_xor_b32 s3, s3, s7
	s_mul_i32 s6, s31, s6
	s_load_dwordx4 s[40:43], s[4:5], 0x98
	s_load_dwordx2 s[54:55], s[4:5], 0xa8
	s_sub_i32 s3, s3, s7
	s_load_dword s8, s[0:1], 0x0
	s_load_dwordx2 s[56:57], s[4:5], 0x90
	s_load_dword s75, s[4:5], 0x7c
	s_load_dwordx2 s[58:59], s[4:5], 0x0
	s_load_dwordx4 s[44:47], s[4:5], 0x1c
	s_load_dword s76, s[4:5], 0x2c
	s_load_dwordx2 s[60:61], s[4:5], 0x30
	s_ashr_i32 s1, s31, 31
	s_ashr_i32 s7, s6, 31
	s_waitcnt lgkmcnt(0)
	s_cmp_lg_u64 s[56:57], 0
	s_cselect_b64 s[62:63], -1, 0
	s_abs_i32 s77, s34
	v_cvt_f32_u32_e32 v1, s77
	s_abs_i32 s78, s39
	v_cvt_f32_u32_e32 v2, s78
	s_mul_i32 s79, s8, s2
	v_rcp_iflag_f32_e32 v1, v1
	s_sub_i32 s2, 0, s77
	v_rcp_iflag_f32_e32 v2, v2
	s_abs_i32 s80, s38
	v_mul_f32_e32 v1, 0x4f7ffffe, v1
	v_cvt_u32_f32_e32 v1, v1
	v_mul_f32_e32 v2, 0x4f7ffffe, v2
	v_cvt_u32_f32_e32 v2, v2
	v_cvt_f32_u32_e32 v5, s80
	v_mul_lo_u32 v3, s2, v1
	s_sub_i32 s2, 0, s78
	v_mul_lo_u32 v4, s2, v2
	s_abs_i32 s83, s3
	v_mul_hi_u32 v3, v1, v3
	v_rcp_iflag_f32_e32 v5, v5
	v_mul_hi_u32 v4, v2, v4
	s_sub_i32 s2, 0, s80
	v_add_u32_e32 v8, v1, v3
	v_cvt_f32_u32_e32 v3, s83
	v_add_u32_e32 v9, v2, v4
	v_cvt_f32_u32_e32 v2, s28
	v_mul_f32_e32 v1, 0x4f7ffffe, v5
	v_rcp_iflag_f32_e32 v3, v3
	v_cvt_u32_f32_e32 v1, v1
	v_rcp_iflag_f32_e32 v2, v2
	s_load_dwordx2 s[66:67], s[4:5], 0x60
	s_load_dwordx4 s[48:51], s[4:5], 0x50
	v_mul_f32_e32 v3, 0x4f7ffffe, v3
	v_cvt_u32_f32_e32 v3, v3
	v_mul_f32_e32 v2, 0x4f7ffffe, v2
	v_cvt_u32_f32_e32 v2, v2
	v_mul_lo_u32 v4, s2, v1
	s_sub_i32 s2, 0, s28
	s_mov_b32 s0, s31
	v_mul_lo_u32 v5, s2, v2
	s_sub_i32 s2, 0, s83
	v_mul_lo_u32 v6, s2, v3
	v_mul_hi_u32 v4, v1, v4
	v_mul_hi_u32 v5, v2, v5
	s_mov_b64 s[64:65], 0
	v_mul_hi_u32 v6, v3, v6
	s_ashr_i32 s81, s34, 31
	s_ashr_i32 s82, s39, 31
	;; [unrolled: 1-line block ×3, first 2 shown]
	v_add_u32_e32 v10, v1, v4
	v_add_u32_e32 v11, v2, v5
	s_ashr_i32 s85, s3, 31
	v_add_u32_e32 v12, v3, v6
	s_waitcnt lgkmcnt(0)
	v_mov_b32_e32 v13, s67
	v_mov_b32_e32 v14, s59
	s_lshl_b64 s[68:69], s[0:1], 2
	s_lshl_b64 s[70:71], s[6:7], 2
	s_branch .LBB3_3
.LBB3_2:                                ;   in Loop: Header=BB3_3 Depth=1
	v_mul_lo_u32 v2, v18, s35
	v_mul_lo_u32 v1, s48, v1
	v_mov_b32_e32 v4, s61
	v_ashrrev_i32_e32 v3, 31, v2
	v_lshlrev_b64 v[2:3], 2, v[2:3]
	v_add_co_u32_e32 v5, vcc, s60, v2
	v_addc_co_u32_e32 v4, vcc, v4, v3, vcc
	v_ashrrev_i32_e32 v2, 31, v1
	v_mul_lo_u32 v3, s49, v17
	v_lshlrev_b64 v[1:2], 2, v[1:2]
	v_add_co_u32_e32 v5, vcc, v5, v1
	v_addc_co_u32_e32 v6, vcc, v4, v2, vcc
	v_ashrrev_i32_e32 v4, 31, v3
	v_lshlrev_b64 v[1:2], 2, v[3:4]
	v_mul_lo_u32 v3, s50, v16
	v_add_co_u32_e32 v5, vcc, v5, v1
	v_addc_co_u32_e32 v6, vcc, v6, v2, vcc
	v_ashrrev_i32_e32 v4, 31, v3
	v_lshlrev_b64 v[1:2], 2, v[3:4]
	v_mul_lo_u32 v3, s51, v15
	v_add_co_u32_e32 v5, vcc, v5, v1
	v_addc_co_u32_e32 v6, vcc, v6, v2, vcc
	v_add_co_u32_e32 v0, vcc, s79, v0
	v_ashrrev_i32_e32 v4, 31, v3
	v_addc_co_u32_e32 v7, vcc, 0, v7, vcc
	v_lshlrev_b64 v[1:2], 2, v[3:4]
	v_mov_b32_e32 v4, s33
	v_add_co_u32_e32 v3, vcc, s36, v0
	v_addc_co_u32_e32 v4, vcc, v4, v7, vcc
	v_cmp_le_i64_e32 vcc, s[52:53], v[3:4]
	v_add_co_u32_e64 v1, s[0:1], v5, v1
	v_addc_co_u32_e64 v2, s[0:1], v6, v2, s[0:1]
	s_or_b64 s[64:65], vcc, s[64:65]
	global_store_dword v[1:2], v19, off
	s_andn2_b64 exec, exec, s[64:65]
	s_cbranch_execz .LBB3_59
.LBB3_3:                                ; =>This Inner Loop Header: Depth=1
	v_add_u32_e32 v2, s36, v0
	v_sub_u32_e32 v1, 0, v2
	v_max_i32_e32 v1, v2, v1
	v_mul_hi_u32 v3, v1, v8
	v_ashrrev_i32_e32 v5, 31, v2
	v_xor_b32_e32 v5, s81, v5
	v_mul_lo_u32 v4, v3, s77
	v_add_u32_e32 v6, 1, v3
	v_sub_u32_e32 v1, v1, v4
	v_cmp_le_u32_e32 vcc, s77, v1
	v_subrev_u32_e32 v4, s77, v1
	v_cndmask_b32_e32 v3, v3, v6, vcc
	v_cndmask_b32_e32 v1, v1, v4, vcc
	v_add_u32_e32 v4, 1, v3
	v_cmp_le_u32_e32 vcc, s77, v1
	v_cndmask_b32_e32 v1, v3, v4, vcc
	v_xor_b32_e32 v1, v1, v5
	v_sub_u32_e32 v3, v1, v5
	v_sub_u32_e32 v1, 0, v3
	v_max_i32_e32 v1, v3, v1
	v_mul_hi_u32 v4, v1, v9
	v_ashrrev_i32_e32 v6, 31, v3
	v_xor_b32_e32 v6, s82, v6
	v_mul_lo_u32 v5, v4, s78
	v_add_u32_e32 v15, 1, v4
	v_sub_u32_e32 v1, v1, v5
	v_cmp_le_u32_e32 vcc, s78, v1
	v_subrev_u32_e32 v5, s78, v1
	v_cndmask_b32_e32 v4, v4, v15, vcc
	v_cndmask_b32_e32 v1, v1, v5, vcc
	v_add_u32_e32 v5, 1, v4
	v_cmp_le_u32_e32 vcc, s78, v1
	v_cndmask_b32_e32 v1, v4, v5, vcc
	v_xor_b32_e32 v1, v1, v6
	v_sub_u32_e32 v4, v1, v6
	;; [unrolled: 17-line block ×4, first 2 shown]
	v_mul_lo_u32 v1, v18, s37
	v_mul_lo_u32 v16, v4, s39
	;; [unrolled: 1-line block ×3, first 2 shown]
	v_sub_u32_e32 v1, v5, v1
	v_sub_u32_e32 v15, 0, v1
	v_max_i32_e32 v19, v1, v15
	v_mul_hi_u32 v20, v19, v12
	v_sub_u32_e32 v16, v3, v16
	v_mul_lo_u32 v5, v5, s38
	v_sub_u32_e32 v15, v2, v6
	v_mul_lo_u32 v3, v20, s83
	v_ashrrev_i32_e32 v2, 31, v1
	v_sub_u32_e32 v17, v4, v5
	v_add_u32_e32 v5, 1, v20
	v_sub_u32_e32 v3, v19, v3
	v_cmp_le_u32_e32 vcc, s83, v3
	v_subrev_u32_e32 v6, s83, v3
	v_cndmask_b32_e32 v5, v20, v5, vcc
	v_cndmask_b32_e32 v3, v3, v6, vcc
	v_add_u32_e32 v6, 1, v5
	v_cmp_le_u32_e32 vcc, s83, v3
	v_xor_b32_e32 v4, s85, v2
	v_cndmask_b32_e32 v5, v5, v6, vcc
	v_mul_lo_u32 v3, s44, v18
	v_xor_b32_e32 v5, v5, v4
	v_sub_u32_e32 v5, v5, v4
	v_mul_lo_u32 v6, v17, s40
	v_mul_lo_u32 v5, s45, v5
	v_ashrrev_i32_e32 v4, 31, v3
	v_lshlrev_b64 v[3:4], 2, v[3:4]
	v_subrev_u32_e32 v20, s43, v6
	v_add_co_u32_e32 v19, vcc, s58, v3
	v_ashrrev_i32_e32 v6, 31, v5
	v_addc_co_u32_e32 v21, vcc, v14, v4, vcc
	v_mul_lo_u32 v22, v16, s41
	v_lshlrev_b64 v[3:4], 2, v[5:6]
	v_mul_lo_u32 v5, s46, v20
	v_add_co_u32_e32 v19, vcc, v19, v3
	v_addc_co_u32_e32 v23, vcc, v21, v4, vcc
	v_subrev_u32_e32 v21, s54, v22
	v_ashrrev_i32_e32 v6, 31, v5
	v_lshlrev_b64 v[3:4], 2, v[5:6]
	v_mul_lo_u32 v5, s47, v21
	v_mul_lo_u32 v22, v15, s42
	v_add_co_u32_e32 v19, vcc, v19, v3
	v_ashrrev_i32_e32 v6, 31, v5
	v_subrev_u32_e32 v22, s55, v22
	v_addc_co_u32_e32 v23, vcc, v23, v4, vcc
	v_lshlrev_b64 v[3:4], 2, v[5:6]
	v_mul_lo_u32 v5, s76, v22
	v_add_co_u32_e32 v19, vcc, v19, v3
	v_addc_co_u32_e32 v24, vcc, v23, v4, vcc
	v_ashrrev_i32_e32 v6, 31, v5
	v_mul_lo_u32 v23, s75, v1
	v_lshlrev_b64 v[3:4], 2, v[5:6]
	v_cmp_gt_i32_e64 s[22:23], s29, v20
	v_add_co_u32_e32 v5, vcc, v19, v3
	v_addc_co_u32_e32 v6, vcc, v24, v4, vcc
	v_ashrrev_i32_e32 v24, 31, v23
	v_or_b32_e32 v19, v20, v21
	v_lshlrev_b64 v[3:4], 2, v[23:24]
	v_cmp_lt_i32_e64 s[8:9], -1, v19
	v_or_b32_e32 v19, v19, v22
	v_cmp_lt_i32_e64 s[0:1], -1, v19
	v_add_co_u32_e32 v3, vcc, s66, v3
	v_cmp_gt_i32_e64 s[10:11], s30, v21
	s_and_b64 s[0:1], s[0:1], s[22:23]
	v_addc_co_u32_e32 v4, vcc, v13, v4, vcc
	s_and_b64 s[2:3], s[0:1], s[10:11]
	v_cmp_gt_i32_e64 s[0:1], s31, v22
	v_cmp_lt_i32_e64 s[14:15], -1, v20
	v_cmp_lt_i32_e64 s[16:17], -1, v21
	v_cmp_lt_i32_e32 vcc, -1, v22
	s_and_b64 s[4:5], s[2:3], s[0:1]
	v_mov_b32_e32 v19, 0
	s_and_saveexec_b64 s[2:3], s[4:5]
	s_cbranch_execz .LBB3_5
; %bb.4:                                ;   in Loop: Header=BB3_3 Depth=1
	global_load_dword v19, v[3:4], off
	global_load_dword v23, v[5:6], off
	s_waitcnt vmcnt(0)
	v_fma_f32 v19, v19, v23, 0
.LBB3_5:                                ;   in Loop: Header=BB3_3 Depth=1
	s_or_b64 exec, exec, s[2:3]
	v_cmp_lt_i32_e64 s[2:3], -2, v22
	s_and_b64 s[4:5], s[8:9], s[2:3]
	v_add_u32_e32 v23, 1, v22
	s_and_b64 s[4:5], s[4:5], s[22:23]
	s_and_b64 s[6:7], s[4:5], s[10:11]
	v_cmp_gt_i32_e64 s[4:5], s31, v23
	s_and_b64 s[12:13], s[6:7], s[4:5]
	s_and_saveexec_b64 s[6:7], s[12:13]
	s_cbranch_execz .LBB3_7
; %bb.6:                                ;   in Loop: Header=BB3_3 Depth=1
	global_load_dword v23, v[3:4], off offset:4
	global_load_dword v24, v[5:6], off offset:4
	s_waitcnt vmcnt(0)
	v_fmac_f32_e32 v19, v23, v24
.LBB3_7:                                ;   in Loop: Header=BB3_3 Depth=1
	s_or_b64 exec, exec, s[6:7]
	v_cmp_lt_i32_e64 s[6:7], -3, v22
	s_and_b64 s[8:9], s[8:9], s[6:7]
	v_add_u32_e32 v23, 2, v22
	s_and_b64 s[8:9], s[8:9], s[22:23]
	s_and_b64 s[12:13], s[8:9], s[10:11]
	v_cmp_gt_i32_e64 s[8:9], s31, v23
	s_and_b64 s[18:19], s[12:13], s[8:9]
	s_and_saveexec_b64 s[12:13], s[18:19]
	s_cbranch_execz .LBB3_9
; %bb.8:                                ;   in Loop: Header=BB3_3 Depth=1
	global_load_dword v22, v[3:4], off offset:8
	global_load_dword v23, v[5:6], off offset:8
	s_waitcnt vmcnt(0)
	v_fmac_f32_e32 v19, v22, v23
.LBB3_9:                                ;   in Loop: Header=BB3_3 Depth=1
	s_or_b64 exec, exec, s[12:13]
	v_cmp_lt_i32_e64 s[18:19], -2, v21
	v_mov_b32_e32 v22, s69
	v_add_co_u32_e64 v5, s[12:13], s68, v5
	s_and_b64 s[20:21], s[14:15], s[18:19]
	v_addc_co_u32_e64 v6, s[12:13], v6, v22, s[12:13]
	v_add_u32_e32 v22, 1, v21
	s_and_b64 s[24:25], s[20:21], vcc
	v_cmp_gt_i32_e64 s[12:13], s30, v22
	s_and_b64 s[24:25], s[24:25], s[22:23]
	s_and_b64 s[24:25], s[24:25], s[12:13]
	;; [unrolled: 1-line block ×3, first 2 shown]
	s_and_saveexec_b64 s[24:25], s[26:27]
	s_cbranch_execz .LBB3_11
; %bb.10:                               ;   in Loop: Header=BB3_3 Depth=1
	global_load_dword v22, v[3:4], off offset:12
	global_load_dword v23, v[5:6], off
	s_waitcnt vmcnt(0)
	v_fmac_f32_e32 v19, v22, v23
.LBB3_11:                               ;   in Loop: Header=BB3_3 Depth=1
	s_or_b64 exec, exec, s[24:25]
	s_and_b64 s[24:25], s[20:21], s[2:3]
	s_and_b64 s[24:25], s[24:25], s[22:23]
	;; [unrolled: 1-line block ×4, first 2 shown]
	s_and_saveexec_b64 s[24:25], s[26:27]
	s_cbranch_execz .LBB3_13
; %bb.12:                               ;   in Loop: Header=BB3_3 Depth=1
	global_load_dword v22, v[3:4], off offset:16
	global_load_dword v23, v[5:6], off offset:4
	s_waitcnt vmcnt(0)
	v_fmac_f32_e32 v19, v22, v23
.LBB3_13:                               ;   in Loop: Header=BB3_3 Depth=1
	s_or_b64 exec, exec, s[24:25]
	s_and_b64 s[20:21], s[20:21], s[6:7]
	s_and_b64 s[20:21], s[20:21], s[22:23]
	;; [unrolled: 1-line block ×4, first 2 shown]
	s_and_saveexec_b64 s[20:21], s[24:25]
	s_cbranch_execz .LBB3_15
; %bb.14:                               ;   in Loop: Header=BB3_3 Depth=1
	global_load_dword v22, v[3:4], off offset:20
	global_load_dword v23, v[5:6], off offset:8
	s_waitcnt vmcnt(0)
	v_fmac_f32_e32 v19, v22, v23
.LBB3_15:                               ;   in Loop: Header=BB3_3 Depth=1
	s_or_b64 exec, exec, s[20:21]
	v_mov_b32_e32 v22, s69
	v_add_co_u32_e64 v5, s[20:21], s68, v5
	v_addc_co_u32_e64 v6, s[20:21], v6, v22, s[20:21]
	v_cmp_lt_i32_e64 s[20:21], -3, v21
	s_and_b64 s[24:25], s[14:15], s[20:21]
	v_add_u32_e32 v22, 2, v21
	s_and_b64 s[26:27], s[24:25], vcc
	v_cmp_gt_i32_e64 s[14:15], s30, v22
	s_and_b64 s[26:27], s[26:27], s[22:23]
	s_and_b64 s[26:27], s[26:27], s[14:15]
	;; [unrolled: 1-line block ×3, first 2 shown]
	s_and_saveexec_b64 s[26:27], s[72:73]
	s_cbranch_execz .LBB3_17
; %bb.16:                               ;   in Loop: Header=BB3_3 Depth=1
	global_load_dword v21, v[3:4], off offset:24
	global_load_dword v22, v[5:6], off
	s_waitcnt vmcnt(0)
	v_fmac_f32_e32 v19, v21, v22
.LBB3_17:                               ;   in Loop: Header=BB3_3 Depth=1
	s_or_b64 exec, exec, s[26:27]
	s_and_b64 s[26:27], s[24:25], s[2:3]
	s_and_b64 s[26:27], s[26:27], s[22:23]
	;; [unrolled: 1-line block ×4, first 2 shown]
	s_and_saveexec_b64 s[26:27], s[72:73]
	s_cbranch_execz .LBB3_19
; %bb.18:                               ;   in Loop: Header=BB3_3 Depth=1
	global_load_dword v21, v[3:4], off offset:28
	global_load_dword v22, v[5:6], off offset:4
	s_waitcnt vmcnt(0)
	v_fmac_f32_e32 v19, v21, v22
.LBB3_19:                               ;   in Loop: Header=BB3_3 Depth=1
	s_or_b64 exec, exec, s[26:27]
	s_and_b64 s[24:25], s[24:25], s[6:7]
	s_and_b64 s[22:23], s[24:25], s[22:23]
	;; [unrolled: 1-line block ×4, first 2 shown]
	s_and_saveexec_b64 s[22:23], s[24:25]
	s_cbranch_execz .LBB3_21
; %bb.20:                               ;   in Loop: Header=BB3_3 Depth=1
	global_load_dword v21, v[3:4], off offset:32
	global_load_dword v22, v[5:6], off offset:8
	s_waitcnt vmcnt(0)
	v_fmac_f32_e32 v19, v21, v22
.LBB3_21:                               ;   in Loop: Header=BB3_3 Depth=1
	s_or_b64 exec, exec, s[22:23]
	v_mov_b32_e32 v21, s69
	v_add_co_u32_e64 v5, s[22:23], s68, v5
	v_addc_co_u32_e64 v6, s[22:23], v6, v21, s[22:23]
	v_mov_b32_e32 v21, s71
	v_add_co_u32_e64 v5, s[22:23], s70, v5
	v_cmp_lt_i32_e64 s[24:25], -2, v20
	v_addc_co_u32_e64 v6, s[22:23], v6, v21, s[22:23]
	v_add_u32_e32 v21, 1, v20
	s_and_b64 s[26:27], s[24:25], s[16:17]
	v_cmp_gt_i32_e64 s[22:23], s29, v21
	s_and_b64 s[72:73], s[26:27], vcc
	s_and_b64 s[72:73], s[72:73], s[22:23]
	s_and_b64 s[72:73], s[72:73], s[10:11]
	;; [unrolled: 1-line block ×3, first 2 shown]
	s_and_saveexec_b64 s[72:73], s[86:87]
	s_cbranch_execz .LBB3_23
; %bb.22:                               ;   in Loop: Header=BB3_3 Depth=1
	global_load_dword v21, v[3:4], off offset:36
	global_load_dword v22, v[5:6], off
	s_waitcnt vmcnt(0)
	v_fmac_f32_e32 v19, v21, v22
.LBB3_23:                               ;   in Loop: Header=BB3_3 Depth=1
	s_or_b64 exec, exec, s[72:73]
	s_and_b64 s[72:73], s[26:27], s[2:3]
	s_and_b64 s[72:73], s[72:73], s[22:23]
	;; [unrolled: 1-line block ×4, first 2 shown]
	s_and_saveexec_b64 s[72:73], s[86:87]
	s_cbranch_execz .LBB3_25
; %bb.24:                               ;   in Loop: Header=BB3_3 Depth=1
	global_load_dword v21, v[3:4], off offset:40
	global_load_dword v22, v[5:6], off offset:4
	s_waitcnt vmcnt(0)
	v_fmac_f32_e32 v19, v21, v22
.LBB3_25:                               ;   in Loop: Header=BB3_3 Depth=1
	s_or_b64 exec, exec, s[72:73]
	s_and_b64 s[26:27], s[26:27], s[6:7]
	s_and_b64 s[26:27], s[26:27], s[22:23]
	;; [unrolled: 1-line block ×4, first 2 shown]
	s_and_saveexec_b64 s[26:27], s[72:73]
	s_cbranch_execz .LBB3_27
; %bb.26:                               ;   in Loop: Header=BB3_3 Depth=1
	global_load_dword v21, v[3:4], off offset:44
	global_load_dword v22, v[5:6], off offset:8
	s_waitcnt vmcnt(0)
	v_fmac_f32_e32 v19, v21, v22
.LBB3_27:                               ;   in Loop: Header=BB3_3 Depth=1
	s_or_b64 exec, exec, s[26:27]
	v_mov_b32_e32 v21, s69
	v_add_co_u32_e64 v5, s[26:27], s68, v5
	v_addc_co_u32_e64 v6, s[26:27], v6, v21, s[26:27]
	s_and_b64 s[26:27], s[24:25], s[18:19]
	s_and_b64 s[72:73], s[26:27], vcc
	s_and_b64 s[72:73], s[72:73], s[22:23]
	s_and_b64 s[72:73], s[72:73], s[12:13]
	;; [unrolled: 1-line block ×3, first 2 shown]
	s_and_saveexec_b64 s[72:73], s[86:87]
	s_cbranch_execz .LBB3_29
; %bb.28:                               ;   in Loop: Header=BB3_3 Depth=1
	global_load_dword v21, v[3:4], off offset:48
	global_load_dword v22, v[5:6], off
	s_waitcnt vmcnt(0)
	v_fmac_f32_e32 v19, v21, v22
.LBB3_29:                               ;   in Loop: Header=BB3_3 Depth=1
	s_or_b64 exec, exec, s[72:73]
	s_and_b64 s[72:73], s[26:27], s[2:3]
	s_and_b64 s[72:73], s[72:73], s[22:23]
	;; [unrolled: 1-line block ×4, first 2 shown]
	s_and_saveexec_b64 s[72:73], s[86:87]
	s_cbranch_execz .LBB3_31
; %bb.30:                               ;   in Loop: Header=BB3_3 Depth=1
	global_load_dword v21, v[3:4], off offset:52
	global_load_dword v22, v[5:6], off offset:4
	s_waitcnt vmcnt(0)
	v_fmac_f32_e32 v19, v21, v22
.LBB3_31:                               ;   in Loop: Header=BB3_3 Depth=1
	s_or_b64 exec, exec, s[72:73]
	s_and_b64 s[26:27], s[26:27], s[6:7]
	s_and_b64 s[26:27], s[26:27], s[22:23]
	;; [unrolled: 1-line block ×4, first 2 shown]
	s_and_saveexec_b64 s[26:27], s[72:73]
	s_cbranch_execz .LBB3_33
; %bb.32:                               ;   in Loop: Header=BB3_3 Depth=1
	global_load_dword v21, v[3:4], off offset:56
	global_load_dword v22, v[5:6], off offset:8
	s_waitcnt vmcnt(0)
	v_fmac_f32_e32 v19, v21, v22
.LBB3_33:                               ;   in Loop: Header=BB3_3 Depth=1
	s_or_b64 exec, exec, s[26:27]
	v_mov_b32_e32 v21, s69
	v_add_co_u32_e64 v5, s[26:27], s68, v5
	v_addc_co_u32_e64 v6, s[26:27], v6, v21, s[26:27]
	s_and_b64 s[24:25], s[24:25], s[20:21]
	s_and_b64 s[26:27], s[24:25], vcc
	s_and_b64 s[26:27], s[26:27], s[22:23]
	s_and_b64 s[26:27], s[26:27], s[14:15]
	;; [unrolled: 1-line block ×3, first 2 shown]
	s_and_saveexec_b64 s[26:27], s[72:73]
	s_cbranch_execz .LBB3_35
; %bb.34:                               ;   in Loop: Header=BB3_3 Depth=1
	global_load_dword v21, v[3:4], off offset:60
	global_load_dword v22, v[5:6], off
	s_waitcnt vmcnt(0)
	v_fmac_f32_e32 v19, v21, v22
.LBB3_35:                               ;   in Loop: Header=BB3_3 Depth=1
	s_or_b64 exec, exec, s[26:27]
	s_and_b64 s[26:27], s[24:25], s[2:3]
	s_and_b64 s[26:27], s[26:27], s[22:23]
	;; [unrolled: 1-line block ×4, first 2 shown]
	s_and_saveexec_b64 s[26:27], s[72:73]
	s_cbranch_execz .LBB3_37
; %bb.36:                               ;   in Loop: Header=BB3_3 Depth=1
	global_load_dword v21, v[3:4], off offset:64
	global_load_dword v22, v[5:6], off offset:4
	s_waitcnt vmcnt(0)
	v_fmac_f32_e32 v19, v21, v22
.LBB3_37:                               ;   in Loop: Header=BB3_3 Depth=1
	s_or_b64 exec, exec, s[26:27]
	s_and_b64 s[24:25], s[24:25], s[6:7]
	s_and_b64 s[22:23], s[24:25], s[22:23]
	;; [unrolled: 1-line block ×4, first 2 shown]
	s_and_saveexec_b64 s[22:23], s[24:25]
	s_cbranch_execz .LBB3_39
; %bb.38:                               ;   in Loop: Header=BB3_3 Depth=1
	global_load_dword v21, v[3:4], off offset:68
	global_load_dword v22, v[5:6], off offset:8
	s_waitcnt vmcnt(0)
	v_fmac_f32_e32 v19, v21, v22
.LBB3_39:                               ;   in Loop: Header=BB3_3 Depth=1
	s_or_b64 exec, exec, s[22:23]
	v_mov_b32_e32 v21, s69
	v_add_co_u32_e64 v5, s[22:23], s68, v5
	v_addc_co_u32_e64 v6, s[22:23], v6, v21, s[22:23]
	v_mov_b32_e32 v21, s71
	v_add_co_u32_e64 v5, s[22:23], s70, v5
	v_cmp_lt_i32_e64 s[24:25], -3, v20
	v_addc_co_u32_e64 v6, s[22:23], v6, v21, s[22:23]
	v_add_u32_e32 v21, 2, v20
	s_and_b64 s[16:17], s[24:25], s[16:17]
	v_cmp_gt_i32_e64 s[22:23], s29, v21
	s_and_b64 s[26:27], s[16:17], vcc
	s_and_b64 s[26:27], s[26:27], s[22:23]
	s_and_b64 s[26:27], s[26:27], s[10:11]
	;; [unrolled: 1-line block ×3, first 2 shown]
	s_and_saveexec_b64 s[26:27], s[72:73]
	s_cbranch_execz .LBB3_41
; %bb.40:                               ;   in Loop: Header=BB3_3 Depth=1
	global_load_dword v20, v[3:4], off offset:72
	global_load_dword v21, v[5:6], off
	s_waitcnt vmcnt(0)
	v_fmac_f32_e32 v19, v20, v21
.LBB3_41:                               ;   in Loop: Header=BB3_3 Depth=1
	s_or_b64 exec, exec, s[26:27]
	s_and_b64 s[26:27], s[16:17], s[2:3]
	s_and_b64 s[26:27], s[26:27], s[22:23]
	;; [unrolled: 1-line block ×4, first 2 shown]
	s_and_saveexec_b64 s[26:27], s[72:73]
	s_cbranch_execz .LBB3_43
; %bb.42:                               ;   in Loop: Header=BB3_3 Depth=1
	global_load_dword v20, v[3:4], off offset:76
	global_load_dword v21, v[5:6], off offset:4
	s_waitcnt vmcnt(0)
	v_fmac_f32_e32 v19, v20, v21
.LBB3_43:                               ;   in Loop: Header=BB3_3 Depth=1
	s_or_b64 exec, exec, s[26:27]
	s_and_b64 s[16:17], s[16:17], s[6:7]
	s_and_b64 s[16:17], s[16:17], s[22:23]
	;; [unrolled: 1-line block ×4, first 2 shown]
	s_and_saveexec_b64 s[10:11], s[16:17]
	s_cbranch_execz .LBB3_45
; %bb.44:                               ;   in Loop: Header=BB3_3 Depth=1
	global_load_dword v20, v[3:4], off offset:80
	global_load_dword v21, v[5:6], off offset:8
	s_waitcnt vmcnt(0)
	v_fmac_f32_e32 v19, v20, v21
.LBB3_45:                               ;   in Loop: Header=BB3_3 Depth=1
	s_or_b64 exec, exec, s[10:11]
	v_mov_b32_e32 v20, s69
	v_add_co_u32_e64 v5, s[10:11], s68, v5
	v_addc_co_u32_e64 v6, s[10:11], v6, v20, s[10:11]
	s_and_b64 s[10:11], s[24:25], s[18:19]
	s_and_b64 s[16:17], s[10:11], vcc
	s_and_b64 s[16:17], s[16:17], s[22:23]
	s_and_b64 s[16:17], s[16:17], s[12:13]
	;; [unrolled: 1-line block ×3, first 2 shown]
	s_and_saveexec_b64 s[16:17], s[18:19]
	s_cbranch_execz .LBB3_47
; %bb.46:                               ;   in Loop: Header=BB3_3 Depth=1
	global_load_dword v20, v[3:4], off offset:84
	global_load_dword v21, v[5:6], off
	s_waitcnt vmcnt(0)
	v_fmac_f32_e32 v19, v20, v21
.LBB3_47:                               ;   in Loop: Header=BB3_3 Depth=1
	s_or_b64 exec, exec, s[16:17]
	s_and_b64 s[16:17], s[10:11], s[2:3]
	s_and_b64 s[16:17], s[16:17], s[22:23]
	;; [unrolled: 1-line block ×4, first 2 shown]
	s_and_saveexec_b64 s[16:17], s[18:19]
	s_cbranch_execz .LBB3_49
; %bb.48:                               ;   in Loop: Header=BB3_3 Depth=1
	global_load_dword v20, v[3:4], off offset:88
	global_load_dword v21, v[5:6], off offset:4
	s_waitcnt vmcnt(0)
	v_fmac_f32_e32 v19, v20, v21
.LBB3_49:                               ;   in Loop: Header=BB3_3 Depth=1
	s_or_b64 exec, exec, s[16:17]
	s_and_b64 s[10:11], s[10:11], s[6:7]
	s_and_b64 s[10:11], s[10:11], s[22:23]
	;; [unrolled: 1-line block ×4, first 2 shown]
	s_and_saveexec_b64 s[10:11], s[12:13]
	s_cbranch_execz .LBB3_51
; %bb.50:                               ;   in Loop: Header=BB3_3 Depth=1
	global_load_dword v20, v[3:4], off offset:92
	global_load_dword v21, v[5:6], off offset:8
	s_waitcnt vmcnt(0)
	v_fmac_f32_e32 v19, v20, v21
.LBB3_51:                               ;   in Loop: Header=BB3_3 Depth=1
	s_or_b64 exec, exec, s[10:11]
	v_mov_b32_e32 v20, s69
	v_add_co_u32_e64 v5, s[10:11], s68, v5
	v_addc_co_u32_e64 v6, s[10:11], v6, v20, s[10:11]
	s_and_b64 s[10:11], s[24:25], s[20:21]
	s_and_b64 s[12:13], s[10:11], vcc
	s_and_b64 s[12:13], s[12:13], s[22:23]
	s_and_b64 s[12:13], s[12:13], s[14:15]
	;; [unrolled: 1-line block ×3, first 2 shown]
	s_and_saveexec_b64 s[0:1], s[12:13]
	s_cbranch_execz .LBB3_53
; %bb.52:                               ;   in Loop: Header=BB3_3 Depth=1
	global_load_dword v20, v[3:4], off offset:96
	global_load_dword v21, v[5:6], off
	s_waitcnt vmcnt(0)
	v_fmac_f32_e32 v19, v20, v21
.LBB3_53:                               ;   in Loop: Header=BB3_3 Depth=1
	s_or_b64 exec, exec, s[0:1]
	s_and_b64 s[0:1], s[10:11], s[2:3]
	s_and_b64 s[0:1], s[0:1], s[22:23]
	;; [unrolled: 1-line block ×4, first 2 shown]
	s_and_saveexec_b64 s[0:1], s[2:3]
	s_cbranch_execz .LBB3_55
; %bb.54:                               ;   in Loop: Header=BB3_3 Depth=1
	global_load_dword v20, v[3:4], off offset:100
	global_load_dword v21, v[5:6], off offset:4
	s_waitcnt vmcnt(0)
	v_fmac_f32_e32 v19, v20, v21
.LBB3_55:                               ;   in Loop: Header=BB3_3 Depth=1
	s_or_b64 exec, exec, s[0:1]
	s_and_b64 s[0:1], s[10:11], s[6:7]
	s_and_b64 s[0:1], s[0:1], s[22:23]
	;; [unrolled: 1-line block ×4, first 2 shown]
	s_and_saveexec_b64 s[0:1], s[2:3]
	s_cbranch_execz .LBB3_57
; %bb.56:                               ;   in Loop: Header=BB3_3 Depth=1
	global_load_dword v3, v[3:4], off offset:104
	s_nop 0
	global_load_dword v4, v[5:6], off offset:8
	s_waitcnt vmcnt(0)
	v_fmac_f32_e32 v19, v3, v4
.LBB3_57:                               ;   in Loop: Header=BB3_3 Depth=1
	s_or_b64 exec, exec, s[0:1]
	s_andn2_b64 vcc, exec, s[62:63]
	s_cbranch_vccnz .LBB3_2
; %bb.58:                               ;   in Loop: Header=BB3_3 Depth=1
	v_lshlrev_b64 v[2:3], 2, v[1:2]
	v_mov_b32_e32 v4, s57
	v_add_co_u32_e32 v2, vcc, s56, v2
	v_addc_co_u32_e32 v3, vcc, v4, v3, vcc
	global_load_dword v2, v[2:3], off
	s_waitcnt vmcnt(0)
	v_add_f32_e32 v19, v19, v2
	s_branch .LBB3_2
.LBB3_59:
	s_endpgm
	.section	.rodata,"a",@progbits
	.p2align	6, 0x0
	.amdhsa_kernel _ZN2at6native12_GLOBAL__N_128conv_depthwise3d_cuda_kernelIffLi3ELi3ELi3ELi1ELi1ELi1EEEvN5torch10headeronly6detail27GenericPackedTensorAccessorINS5_14TensorAccessorIN3c108ArrayRefIlEEKT_Lm4ENS4_16DefaultPtrTraitsEiEENS_6detail16IndexBoundsCheckILm5EiEESC_Lm5ESD_iEENS6_INS7_ISA_SB_Lm4ESD_iEESH_SB_Lm5ESD_iEESI_PSC_iiiiiiiii
		.amdhsa_group_segment_fixed_size 0
		.amdhsa_private_segment_fixed_size 0
		.amdhsa_kernarg_size 448
		.amdhsa_user_sgpr_count 6
		.amdhsa_user_sgpr_private_segment_buffer 1
		.amdhsa_user_sgpr_dispatch_ptr 0
		.amdhsa_user_sgpr_queue_ptr 0
		.amdhsa_user_sgpr_kernarg_segment_ptr 1
		.amdhsa_user_sgpr_dispatch_id 0
		.amdhsa_user_sgpr_flat_scratch_init 0
		.amdhsa_user_sgpr_private_segment_size 0
		.amdhsa_uses_dynamic_stack 0
		.amdhsa_system_sgpr_private_segment_wavefront_offset 0
		.amdhsa_system_sgpr_workgroup_id_x 1
		.amdhsa_system_sgpr_workgroup_id_y 0
		.amdhsa_system_sgpr_workgroup_id_z 0
		.amdhsa_system_sgpr_workgroup_info 0
		.amdhsa_system_vgpr_workitem_id 0
		.amdhsa_next_free_vgpr 25
		.amdhsa_next_free_sgpr 88
		.amdhsa_reserve_vcc 1
		.amdhsa_reserve_flat_scratch 0
		.amdhsa_float_round_mode_32 0
		.amdhsa_float_round_mode_16_64 0
		.amdhsa_float_denorm_mode_32 3
		.amdhsa_float_denorm_mode_16_64 3
		.amdhsa_dx10_clamp 1
		.amdhsa_ieee_mode 1
		.amdhsa_fp16_overflow 0
		.amdhsa_exception_fp_ieee_invalid_op 0
		.amdhsa_exception_fp_denorm_src 0
		.amdhsa_exception_fp_ieee_div_zero 0
		.amdhsa_exception_fp_ieee_overflow 0
		.amdhsa_exception_fp_ieee_underflow 0
		.amdhsa_exception_fp_ieee_inexact 0
		.amdhsa_exception_int_div_zero 0
	.end_amdhsa_kernel
	.section	.text._ZN2at6native12_GLOBAL__N_128conv_depthwise3d_cuda_kernelIffLi3ELi3ELi3ELi1ELi1ELi1EEEvN5torch10headeronly6detail27GenericPackedTensorAccessorINS5_14TensorAccessorIN3c108ArrayRefIlEEKT_Lm4ENS4_16DefaultPtrTraitsEiEENS_6detail16IndexBoundsCheckILm5EiEESC_Lm5ESD_iEENS6_INS7_ISA_SB_Lm4ESD_iEESH_SB_Lm5ESD_iEESI_PSC_iiiiiiiii,"axG",@progbits,_ZN2at6native12_GLOBAL__N_128conv_depthwise3d_cuda_kernelIffLi3ELi3ELi3ELi1ELi1ELi1EEEvN5torch10headeronly6detail27GenericPackedTensorAccessorINS5_14TensorAccessorIN3c108ArrayRefIlEEKT_Lm4ENS4_16DefaultPtrTraitsEiEENS_6detail16IndexBoundsCheckILm5EiEESC_Lm5ESD_iEENS6_INS7_ISA_SB_Lm4ESD_iEESH_SB_Lm5ESD_iEESI_PSC_iiiiiiiii,comdat
.Lfunc_end3:
	.size	_ZN2at6native12_GLOBAL__N_128conv_depthwise3d_cuda_kernelIffLi3ELi3ELi3ELi1ELi1ELi1EEEvN5torch10headeronly6detail27GenericPackedTensorAccessorINS5_14TensorAccessorIN3c108ArrayRefIlEEKT_Lm4ENS4_16DefaultPtrTraitsEiEENS_6detail16IndexBoundsCheckILm5EiEESC_Lm5ESD_iEENS6_INS7_ISA_SB_Lm4ESD_iEESH_SB_Lm5ESD_iEESI_PSC_iiiiiiiii, .Lfunc_end3-_ZN2at6native12_GLOBAL__N_128conv_depthwise3d_cuda_kernelIffLi3ELi3ELi3ELi1ELi1ELi1EEEvN5torch10headeronly6detail27GenericPackedTensorAccessorINS5_14TensorAccessorIN3c108ArrayRefIlEEKT_Lm4ENS4_16DefaultPtrTraitsEiEENS_6detail16IndexBoundsCheckILm5EiEESC_Lm5ESD_iEENS6_INS7_ISA_SB_Lm4ESD_iEESH_SB_Lm5ESD_iEESI_PSC_iiiiiiiii
                                        ; -- End function
	.set _ZN2at6native12_GLOBAL__N_128conv_depthwise3d_cuda_kernelIffLi3ELi3ELi3ELi1ELi1ELi1EEEvN5torch10headeronly6detail27GenericPackedTensorAccessorINS5_14TensorAccessorIN3c108ArrayRefIlEEKT_Lm4ENS4_16DefaultPtrTraitsEiEENS_6detail16IndexBoundsCheckILm5EiEESC_Lm5ESD_iEENS6_INS7_ISA_SB_Lm4ESD_iEESH_SB_Lm5ESD_iEESI_PSC_iiiiiiiii.num_vgpr, 25
	.set _ZN2at6native12_GLOBAL__N_128conv_depthwise3d_cuda_kernelIffLi3ELi3ELi3ELi1ELi1ELi1EEEvN5torch10headeronly6detail27GenericPackedTensorAccessorINS5_14TensorAccessorIN3c108ArrayRefIlEEKT_Lm4ENS4_16DefaultPtrTraitsEiEENS_6detail16IndexBoundsCheckILm5EiEESC_Lm5ESD_iEENS6_INS7_ISA_SB_Lm4ESD_iEESH_SB_Lm5ESD_iEESI_PSC_iiiiiiiii.num_agpr, 0
	.set _ZN2at6native12_GLOBAL__N_128conv_depthwise3d_cuda_kernelIffLi3ELi3ELi3ELi1ELi1ELi1EEEvN5torch10headeronly6detail27GenericPackedTensorAccessorINS5_14TensorAccessorIN3c108ArrayRefIlEEKT_Lm4ENS4_16DefaultPtrTraitsEiEENS_6detail16IndexBoundsCheckILm5EiEESC_Lm5ESD_iEENS6_INS7_ISA_SB_Lm4ESD_iEESH_SB_Lm5ESD_iEESI_PSC_iiiiiiiii.numbered_sgpr, 88
	.set _ZN2at6native12_GLOBAL__N_128conv_depthwise3d_cuda_kernelIffLi3ELi3ELi3ELi1ELi1ELi1EEEvN5torch10headeronly6detail27GenericPackedTensorAccessorINS5_14TensorAccessorIN3c108ArrayRefIlEEKT_Lm4ENS4_16DefaultPtrTraitsEiEENS_6detail16IndexBoundsCheckILm5EiEESC_Lm5ESD_iEENS6_INS7_ISA_SB_Lm4ESD_iEESH_SB_Lm5ESD_iEESI_PSC_iiiiiiiii.num_named_barrier, 0
	.set _ZN2at6native12_GLOBAL__N_128conv_depthwise3d_cuda_kernelIffLi3ELi3ELi3ELi1ELi1ELi1EEEvN5torch10headeronly6detail27GenericPackedTensorAccessorINS5_14TensorAccessorIN3c108ArrayRefIlEEKT_Lm4ENS4_16DefaultPtrTraitsEiEENS_6detail16IndexBoundsCheckILm5EiEESC_Lm5ESD_iEENS6_INS7_ISA_SB_Lm4ESD_iEESH_SB_Lm5ESD_iEESI_PSC_iiiiiiiii.private_seg_size, 0
	.set _ZN2at6native12_GLOBAL__N_128conv_depthwise3d_cuda_kernelIffLi3ELi3ELi3ELi1ELi1ELi1EEEvN5torch10headeronly6detail27GenericPackedTensorAccessorINS5_14TensorAccessorIN3c108ArrayRefIlEEKT_Lm4ENS4_16DefaultPtrTraitsEiEENS_6detail16IndexBoundsCheckILm5EiEESC_Lm5ESD_iEENS6_INS7_ISA_SB_Lm4ESD_iEESH_SB_Lm5ESD_iEESI_PSC_iiiiiiiii.uses_vcc, 1
	.set _ZN2at6native12_GLOBAL__N_128conv_depthwise3d_cuda_kernelIffLi3ELi3ELi3ELi1ELi1ELi1EEEvN5torch10headeronly6detail27GenericPackedTensorAccessorINS5_14TensorAccessorIN3c108ArrayRefIlEEKT_Lm4ENS4_16DefaultPtrTraitsEiEENS_6detail16IndexBoundsCheckILm5EiEESC_Lm5ESD_iEENS6_INS7_ISA_SB_Lm4ESD_iEESH_SB_Lm5ESD_iEESI_PSC_iiiiiiiii.uses_flat_scratch, 0
	.set _ZN2at6native12_GLOBAL__N_128conv_depthwise3d_cuda_kernelIffLi3ELi3ELi3ELi1ELi1ELi1EEEvN5torch10headeronly6detail27GenericPackedTensorAccessorINS5_14TensorAccessorIN3c108ArrayRefIlEEKT_Lm4ENS4_16DefaultPtrTraitsEiEENS_6detail16IndexBoundsCheckILm5EiEESC_Lm5ESD_iEENS6_INS7_ISA_SB_Lm4ESD_iEESH_SB_Lm5ESD_iEESI_PSC_iiiiiiiii.has_dyn_sized_stack, 0
	.set _ZN2at6native12_GLOBAL__N_128conv_depthwise3d_cuda_kernelIffLi3ELi3ELi3ELi1ELi1ELi1EEEvN5torch10headeronly6detail27GenericPackedTensorAccessorINS5_14TensorAccessorIN3c108ArrayRefIlEEKT_Lm4ENS4_16DefaultPtrTraitsEiEENS_6detail16IndexBoundsCheckILm5EiEESC_Lm5ESD_iEENS6_INS7_ISA_SB_Lm4ESD_iEESH_SB_Lm5ESD_iEESI_PSC_iiiiiiiii.has_recursion, 0
	.set _ZN2at6native12_GLOBAL__N_128conv_depthwise3d_cuda_kernelIffLi3ELi3ELi3ELi1ELi1ELi1EEEvN5torch10headeronly6detail27GenericPackedTensorAccessorINS5_14TensorAccessorIN3c108ArrayRefIlEEKT_Lm4ENS4_16DefaultPtrTraitsEiEENS_6detail16IndexBoundsCheckILm5EiEESC_Lm5ESD_iEENS6_INS7_ISA_SB_Lm4ESD_iEESH_SB_Lm5ESD_iEESI_PSC_iiiiiiiii.has_indirect_call, 0
	.section	.AMDGPU.csdata,"",@progbits
; Kernel info:
; codeLenInByte = 3332
; TotalNumSgprs: 92
; NumVgprs: 25
; ScratchSize: 0
; MemoryBound: 0
; FloatMode: 240
; IeeeMode: 1
; LDSByteSize: 0 bytes/workgroup (compile time only)
; SGPRBlocks: 11
; VGPRBlocks: 6
; NumSGPRsForWavesPerEU: 92
; NumVGPRsForWavesPerEU: 25
; Occupancy: 8
; WaveLimiterHint : 0
; COMPUTE_PGM_RSRC2:SCRATCH_EN: 0
; COMPUTE_PGM_RSRC2:USER_SGPR: 6
; COMPUTE_PGM_RSRC2:TRAP_HANDLER: 0
; COMPUTE_PGM_RSRC2:TGID_X_EN: 1
; COMPUTE_PGM_RSRC2:TGID_Y_EN: 0
; COMPUTE_PGM_RSRC2:TGID_Z_EN: 0
; COMPUTE_PGM_RSRC2:TIDIG_COMP_CNT: 0
	.section	.text._ZN2at6native12_GLOBAL__N_128conv_depthwise3d_cuda_kernelIffLin1ELin1ELin1ELi1ELi1ELi1EEEvN5torch10headeronly6detail27GenericPackedTensorAccessorINS5_14TensorAccessorIN3c108ArrayRefIlEEKT_Lm4ENS4_16DefaultPtrTraitsEiEENS_6detail16IndexBoundsCheckILm5EiEESC_Lm5ESD_iEENS6_INS7_ISA_SB_Lm4ESD_iEESH_SB_Lm5ESD_iEESI_PSC_iiiiiiiii,"axG",@progbits,_ZN2at6native12_GLOBAL__N_128conv_depthwise3d_cuda_kernelIffLin1ELin1ELin1ELi1ELi1ELi1EEEvN5torch10headeronly6detail27GenericPackedTensorAccessorINS5_14TensorAccessorIN3c108ArrayRefIlEEKT_Lm4ENS4_16DefaultPtrTraitsEiEENS_6detail16IndexBoundsCheckILm5EiEESC_Lm5ESD_iEENS6_INS7_ISA_SB_Lm4ESD_iEESH_SB_Lm5ESD_iEESI_PSC_iiiiiiiii,comdat
	.globl	_ZN2at6native12_GLOBAL__N_128conv_depthwise3d_cuda_kernelIffLin1ELin1ELin1ELi1ELi1ELi1EEEvN5torch10headeronly6detail27GenericPackedTensorAccessorINS5_14TensorAccessorIN3c108ArrayRefIlEEKT_Lm4ENS4_16DefaultPtrTraitsEiEENS_6detail16IndexBoundsCheckILm5EiEESC_Lm5ESD_iEENS6_INS7_ISA_SB_Lm4ESD_iEESH_SB_Lm5ESD_iEESI_PSC_iiiiiiiii ; -- Begin function _ZN2at6native12_GLOBAL__N_128conv_depthwise3d_cuda_kernelIffLin1ELin1ELin1ELi1ELi1ELi1EEEvN5torch10headeronly6detail27GenericPackedTensorAccessorINS5_14TensorAccessorIN3c108ArrayRefIlEEKT_Lm4ENS4_16DefaultPtrTraitsEiEENS_6detail16IndexBoundsCheckILm5EiEESC_Lm5ESD_iEENS6_INS7_ISA_SB_Lm4ESD_iEESH_SB_Lm5ESD_iEESI_PSC_iiiiiiiii
	.p2align	8
	.type	_ZN2at6native12_GLOBAL__N_128conv_depthwise3d_cuda_kernelIffLin1ELin1ELin1ELi1ELi1ELi1EEEvN5torch10headeronly6detail27GenericPackedTensorAccessorINS5_14TensorAccessorIN3c108ArrayRefIlEEKT_Lm4ENS4_16DefaultPtrTraitsEiEENS_6detail16IndexBoundsCheckILm5EiEESC_Lm5ESD_iEENS6_INS7_ISA_SB_Lm4ESD_iEESH_SB_Lm5ESD_iEESI_PSC_iiiiiiiii,@function
_ZN2at6native12_GLOBAL__N_128conv_depthwise3d_cuda_kernelIffLin1ELin1ELin1ELi1ELi1ELi1EEEvN5torch10headeronly6detail27GenericPackedTensorAccessorINS5_14TensorAccessorIN3c108ArrayRefIlEEKT_Lm4ENS4_16DefaultPtrTraitsEiEENS_6detail16IndexBoundsCheckILm5EiEESC_Lm5ESD_iEENS6_INS7_ISA_SB_Lm4ESD_iEESH_SB_Lm5ESD_iEESI_PSC_iiiiiiiii: ; @_ZN2at6native12_GLOBAL__N_128conv_depthwise3d_cuda_kernelIffLin1ELin1ELin1ELi1ELi1ELi1EEEvN5torch10headeronly6detail27GenericPackedTensorAccessorINS5_14TensorAccessorIN3c108ArrayRefIlEEKT_Lm4ENS4_16DefaultPtrTraitsEiEENS_6detail16IndexBoundsCheckILm5EiEESC_Lm5ESD_iEENS6_INS7_ISA_SB_Lm4ESD_iEESH_SB_Lm5ESD_iEESI_PSC_iiiiiiiii
; %bb.0:
	s_load_dwordx4 s[8:11], s[4:5], 0xc
	s_load_dwordx4 s[12:15], s[4:5], 0x38
	s_load_dwordx2 s[34:35], s[4:5], 0x48
	s_load_dword s3, s[4:5], 0xcc
	v_mov_b32_e32 v1, 0
	v_mov_b32_e32 v3, s6
	s_waitcnt lgkmcnt(0)
	s_abs_i32 s2, s8
	v_cvt_f32_u32_e32 v2, s2
	s_add_u32 s0, s4, 0xc0
	s_addc_u32 s1, s5, 0
	s_and_b32 s6, s3, 0xffff
	v_rcp_iflag_f32_e32 v2, v2
	v_mad_u64_u32 v[0:1], s[16:17], s6, v3, v[0:1]
	s_mul_i32 s36, s35, s12
	v_mul_f32_e32 v2, 0x4f7ffffe, v2
	v_cvt_u32_f32_e32 v2, v2
	s_ashr_i32 s37, s36, 31
	v_cmp_gt_i64_e32 vcc, s[36:37], v[0:1]
	v_readfirstlane_b32 s3, v2
	s_and_saveexec_b64 s[16:17], vcc
	s_cbranch_execz .LBB4_17
; %bb.1:
	s_sub_i32 s16, 0, s2
	s_mul_i32 s16, s16, s3
	s_mul_hi_u32 s16, s3, s16
	s_ashr_i32 s7, s8, 31
	s_abs_i32 s8, s13
	s_add_i32 s3, s3, s16
	s_mul_hi_u32 s3, s8, s3
	s_load_dwordx2 s[38:39], s[4:5], 0x90
	s_load_dwordx4 s[16:19], s[4:5], 0x98
	s_load_dwordx2 s[40:41], s[4:5], 0xa8
	s_load_dwordx4 s[20:23], s[4:5], 0x70
	s_waitcnt lgkmcnt(0)
	s_mul_i32 s23, s3, s2
	s_ashr_i32 s12, s13, 31
	s_sub_i32 s23, s8, s23
	s_xor_b32 s7, s12, s7
	s_add_i32 s24, s3, 1
	s_sub_i32 s25, s23, s2
	s_cmp_ge_u32 s23, s2
	s_cselect_b32 s3, s24, s3
	s_cselect_b32 s23, s25, s23
	s_add_i32 s24, s3, 1
	s_cmp_ge_u32 s23, s2
	s_cselect_b32 s2, s24, s3
	s_xor_b32 s2, s2, s7
	s_sub_i32 s7, s2, s7
	s_cmp_gt_i32 s20, 0
	s_cselect_b64 s[56:57], -1, 0
	s_cmp_gt_i32 s21, 0
	s_cselect_b64 s[44:45], -1, 0
	;; [unrolled: 2-line block ×3, first 2 shown]
	s_sub_i32 s2, s10, s21
	s_load_dword s58, s[0:1], 0x0
	s_load_dword s23, s[4:5], 0x7c
	s_load_dwordx2 s[42:43], s[4:5], 0x0
	s_load_dwordx4 s[24:27], s[4:5], 0x1c
	s_sub_i32 s0, s11, s22
	s_mul_i32 s2, s11, s2
	s_ashr_i32 s1, s0, 31
	s_ashr_i32 s3, s2, 31
	s_cmp_lg_u64 s[38:39], 0
	s_cselect_b64 s[48:49], -1, 0
	s_abs_i32 s33, s34
	v_cvt_f32_u32_e32 v2, s33
	s_load_dword s62, s[4:5], 0x2c
	s_load_dwordx2 s[50:51], s[4:5], 0x30
	s_load_dwordx2 s[54:55], s[4:5], 0x60
	s_load_dwordx4 s[28:31], s[4:5], 0x50
	s_sub_i32 s4, 0, s33
	v_rcp_iflag_f32_e32 v2, v2
	s_abs_i32 s65, s14
	v_cvt_f32_u32_e32 v5, s65
	s_abs_i32 s63, s15
	v_mul_f32_e32 v2, 0x4f7ffffe, v2
	v_cvt_u32_f32_e32 v2, v2
	v_rcp_iflag_f32_e32 v5, v5
	v_cvt_f32_u32_e32 v3, s63
	s_abs_i32 s67, s7
	v_mul_lo_u32 v4, s4, v2
	v_cvt_f32_u32_e32 v7, s67
	v_rcp_iflag_f32_e32 v3, v3
	s_sub_i32 s4, 0, s63
	v_mul_hi_u32 v4, v2, v4
	v_rcp_iflag_f32_e32 v7, v7
	v_mul_f32_e32 v3, 0x4f7ffffe, v3
	v_cvt_u32_f32_e32 v3, v3
	v_add_u32_e32 v8, v2, v4
	v_mul_f32_e32 v4, 0x4f7ffffe, v5
	v_cvt_f32_u32_e32 v5, s8
	v_cvt_u32_f32_e32 v4, v4
	v_mul_f32_e32 v7, 0x4f7ffffe, v7
	v_mul_lo_u32 v6, s4, v3
	v_rcp_iflag_f32_e32 v5, v5
	v_cvt_u32_f32_e32 v7, v7
	s_sub_i32 s4, 0, s65
	v_mul_lo_u32 v9, s4, v4
	v_mul_f32_e32 v5, 0x4f7ffffe, v5
	v_cvt_u32_f32_e32 v5, v5
	s_sub_i32 s4, 0, s8
	v_mul_hi_u32 v2, v3, v6
	v_mul_hi_u32 v12, v4, v9
	v_mul_lo_u32 v10, s4, v5
	s_sub_i32 s4, 0, s67
	v_mul_lo_u32 v11, s4, v7
	v_add_u32_e32 v9, v3, v2
	v_mul_hi_u32 v13, v5, v10
	v_cndmask_b32_e64 v6, 0, 1, s[56:57]
	v_mul_hi_u32 v2, v7, v11
	s_mov_b64 s[52:53], 0
	s_waitcnt lgkmcnt(0)
	s_mul_i32 s64, s58, s6
	s_ashr_i32 s66, s34, 31
	s_ashr_i32 s68, s15, 31
	v_add_u32_e32 v10, v4, v12
	v_add_u32_e32 v11, v5, v13
	s_ashr_i32 s69, s7, 31
	v_add_u32_e32 v12, v7, v2
	s_lshl_b64 s[56:57], s[0:1], 2
	s_lshl_b64 s[58:59], s[2:3], 2
	s_ashr_i32 s70, s14, 31
	v_cmp_ne_u32_e64 s[0:1], 1, v6
	s_branch .LBB4_3
.LBB4_2:                                ;   in Loop: Header=BB4_3 Depth=1
	v_mul_lo_u32 v3, v16, s35
	v_mul_lo_u32 v2, s28, v2
	v_mov_b32_e32 v5, s51
	v_ashrrev_i32_e32 v4, 31, v3
	v_lshlrev_b64 v[3:4], 2, v[3:4]
	v_add_co_u32_e32 v6, vcc, s50, v3
	v_addc_co_u32_e32 v5, vcc, v5, v4, vcc
	v_ashrrev_i32_e32 v3, 31, v2
	v_mul_lo_u32 v4, s29, v15
	v_lshlrev_b64 v[2:3], 2, v[2:3]
	v_add_co_u32_e32 v6, vcc, v6, v2
	v_addc_co_u32_e32 v7, vcc, v5, v3, vcc
	v_ashrrev_i32_e32 v5, 31, v4
	v_lshlrev_b64 v[2:3], 2, v[4:5]
	v_mul_lo_u32 v4, s30, v14
	v_add_co_u32_e32 v6, vcc, v6, v2
	v_addc_co_u32_e32 v7, vcc, v7, v3, vcc
	v_ashrrev_i32_e32 v5, 31, v4
	v_lshlrev_b64 v[2:3], 2, v[4:5]
	v_mul_lo_u32 v4, s31, v13
	v_add_co_u32_e32 v6, vcc, v6, v2
	v_addc_co_u32_e32 v7, vcc, v7, v3, vcc
	v_ashrrev_i32_e32 v5, 31, v4
	v_add_co_u32_e32 v0, vcc, s64, v0
	v_lshlrev_b64 v[2:3], 2, v[4:5]
	v_addc_co_u32_e32 v1, vcc, 0, v1, vcc
	v_cmp_le_i64_e32 vcc, s[36:37], v[0:1]
	v_add_co_u32_e64 v2, s[2:3], v6, v2
	v_addc_co_u32_e64 v3, s[2:3], v7, v3, s[2:3]
	s_or_b64 s[52:53], vcc, s[52:53]
	global_store_dword v[2:3], v17, off
	s_andn2_b64 exec, exec, s[52:53]
	s_cbranch_execz .LBB4_17
.LBB4_3:                                ; =>This Loop Header: Depth=1
                                        ;     Child Loop BB4_6 Depth 2
                                        ;       Child Loop BB4_9 Depth 3
                                        ;         Child Loop BB4_12 Depth 4
	v_sub_u32_e32 v2, 0, v0
	v_max_i32_e32 v2, v0, v2
	v_mul_hi_u32 v3, v2, v8
	v_ashrrev_i32_e32 v5, 31, v0
	v_xor_b32_e32 v5, s66, v5
	v_mul_lo_u32 v4, v3, s33
	v_add_u32_e32 v6, 1, v3
	v_sub_u32_e32 v2, v2, v4
	v_cmp_le_u32_e32 vcc, s33, v2
	v_subrev_u32_e32 v4, s33, v2
	v_cndmask_b32_e32 v3, v3, v6, vcc
	v_cndmask_b32_e32 v2, v2, v4, vcc
	v_add_u32_e32 v4, 1, v3
	v_cmp_le_u32_e32 vcc, s33, v2
	v_cndmask_b32_e32 v2, v3, v4, vcc
	v_xor_b32_e32 v2, v2, v5
	v_sub_u32_e32 v2, v2, v5
	v_sub_u32_e32 v3, 0, v2
	v_max_i32_e32 v3, v2, v3
	v_mul_hi_u32 v4, v3, v9
	v_ashrrev_i32_e32 v6, 31, v2
	v_xor_b32_e32 v6, s68, v6
	v_mul_lo_u32 v5, v4, s63
	v_add_u32_e32 v7, 1, v4
	v_sub_u32_e32 v3, v3, v5
	v_cmp_le_u32_e32 vcc, s63, v3
	v_subrev_u32_e32 v5, s63, v3
	v_cndmask_b32_e32 v4, v4, v7, vcc
	v_cndmask_b32_e32 v3, v3, v5, vcc
	v_add_u32_e32 v5, 1, v4
	v_cmp_le_u32_e32 vcc, s63, v3
	v_cndmask_b32_e32 v3, v4, v5, vcc
	v_xor_b32_e32 v3, v3, v6
	v_sub_u32_e32 v3, v3, v6
	v_sub_u32_e32 v4, 0, v3
	v_max_i32_e32 v4, v3, v4
	v_mul_hi_u32 v5, v4, v10
	v_ashrrev_i32_e32 v7, 31, v3
	v_xor_b32_e32 v7, s70, v7
	v_mul_lo_u32 v14, v3, s15
	v_mul_lo_u32 v6, v5, s65
	v_add_u32_e32 v13, 1, v5
	v_sub_u32_e32 v14, v2, v14
	v_sub_u32_e32 v4, v4, v6
	v_cmp_le_u32_e32 vcc, s65, v4
	v_subrev_u32_e32 v6, s65, v4
	v_cndmask_b32_e32 v5, v5, v13, vcc
	v_cndmask_b32_e32 v4, v4, v6, vcc
	v_add_u32_e32 v6, 1, v5
	v_cmp_le_u32_e32 vcc, s65, v4
	v_cndmask_b32_e32 v4, v5, v6, vcc
	v_xor_b32_e32 v4, v4, v7
	v_sub_u32_e32 v4, v4, v7
	v_sub_u32_e32 v5, 0, v4
	v_max_i32_e32 v5, v4, v5
	v_mul_hi_u32 v6, v5, v11
	v_ashrrev_i32_e32 v16, 31, v4
	v_xor_b32_e32 v16, s12, v16
	v_mul_lo_u32 v7, v2, s34
	v_mul_lo_u32 v13, v6, s8
	;; [unrolled: 1-line block ×3, first 2 shown]
	v_sub_u32_e32 v5, v5, v13
	v_add_u32_e32 v13, 1, v6
	v_cmp_le_u32_e32 vcc, s8, v5
	v_cndmask_b32_e32 v6, v6, v13, vcc
	v_subrev_u32_e32 v13, s8, v5
	v_cndmask_b32_e32 v5, v5, v13, vcc
	v_add_u32_e32 v13, 1, v6
	v_cmp_le_u32_e32 vcc, s8, v5
	v_cndmask_b32_e32 v5, v6, v13, vcc
	v_xor_b32_e32 v5, v5, v16
	v_sub_u32_e32 v16, v5, v16
	v_mul_lo_u32 v5, v16, s13
	v_sub_u32_e32 v13, v0, v7
	v_sub_u32_e32 v15, v3, v15
	s_and_b64 vcc, exec, s[0:1]
	v_sub_u32_e32 v2, v4, v5
	v_ashrrev_i32_e32 v3, 31, v2
	s_cbranch_vccnz .LBB4_14
; %bb.4:                                ;   in Loop: Header=BB4_3 Depth=1
	v_mul_lo_u32 v5, v13, s18
	v_mul_lo_u32 v6, v14, s17
	;; [unrolled: 1-line block ×3, first 2 shown]
	v_xor_b32_e32 v22, s69, v3
	v_subrev_u32_e32 v18, s41, v5
	v_sub_u32_e32 v5, 0, v2
	v_max_i32_e32 v17, v2, v5
	v_mul_hi_u32 v21, v17, v12
	v_subrev_u32_e32 v19, s40, v6
	v_mul_lo_u32 v7, v15, s16
	v_ashrrev_i32_e32 v5, 31, v4
	v_mul_lo_u32 v6, v21, s67
	v_lshlrev_b64 v[4:5], 2, v[4:5]
	v_subrev_u32_e32 v20, s19, v7
	v_mov_b32_e32 v7, s43
	v_sub_u32_e32 v6, v17, v6
	v_add_u32_e32 v17, 1, v21
	v_cmp_le_u32_e32 vcc, s67, v6
	v_cndmask_b32_e32 v17, v21, v17, vcc
	v_subrev_u32_e32 v21, s67, v6
	v_cndmask_b32_e32 v6, v6, v21, vcc
	v_add_u32_e32 v21, 1, v17
	v_cmp_le_u32_e32 vcc, s67, v6
	v_cndmask_b32_e32 v6, v17, v21, vcc
	v_xor_b32_e32 v6, v6, v22
	v_sub_u32_e32 v6, v6, v22
	v_mul_lo_u32 v6, s25, v6
	v_add_co_u32_e32 v17, vcc, s42, v4
	v_addc_co_u32_e32 v21, vcc, v7, v5, vcc
	v_ashrrev_i32_e32 v7, 31, v6
	v_lshlrev_b64 v[4:5], 2, v[6:7]
	v_mul_lo_u32 v6, s26, v20
	v_add_co_u32_e32 v17, vcc, v17, v4
	v_addc_co_u32_e32 v21, vcc, v21, v5, vcc
	v_ashrrev_i32_e32 v7, 31, v6
	v_lshlrev_b64 v[4:5], 2, v[6:7]
	;; [unrolled: 5-line block ×5, first 2 shown]
	v_mov_b32_e32 v17, s55
	v_add_co_u32_e32 v6, vcc, s54, v6
	s_mov_b32 s71, 0
	v_addc_co_u32_e32 v7, vcc, v17, v7, vcc
	v_mov_b32_e32 v17, 0
	s_branch .LBB4_6
.LBB4_5:                                ;   in Loop: Header=BB4_6 Depth=2
	v_mov_b32_e32 v21, s59
	s_add_i32 s71, s71, 1
	v_add_co_u32_e32 v4, vcc, s58, v4
	s_cmp_eq_u32 s71, s20
	v_addc_co_u32_e32 v5, vcc, v5, v21, vcc
	s_cbranch_scc1 .LBB4_15
.LBB4_6:                                ;   Parent Loop BB4_3 Depth=1
                                        ; =>  This Loop Header: Depth=2
                                        ;       Child Loop BB4_9 Depth 3
                                        ;         Child Loop BB4_12 Depth 4
	s_andn2_b64 vcc, exec, s[44:45]
	s_cbranch_vccnz .LBB4_5
; %bb.7:                                ;   in Loop: Header=BB4_6 Depth=2
	v_add_u32_e32 v21, s71, v20
	v_cmp_lt_i32_e64 s[2:3], -1, v21
	v_cmp_gt_i32_e64 s[4:5], s9, v21
	s_mov_b32 s72, 0
	s_branch .LBB4_9
.LBB4_8:                                ;   in Loop: Header=BB4_9 Depth=3
	v_mov_b32_e32 v21, s57
	s_add_i32 s72, s72, 1
	v_add_co_u32_e32 v4, vcc, s56, v4
	s_cmp_eq_u32 s72, s21
	v_addc_co_u32_e32 v5, vcc, v5, v21, vcc
	s_cbranch_scc1 .LBB4_5
.LBB4_9:                                ;   Parent Loop BB4_3 Depth=1
                                        ;     Parent Loop BB4_6 Depth=2
                                        ; =>    This Loop Header: Depth=3
                                        ;         Child Loop BB4_12 Depth 4
	s_andn2_b64 vcc, exec, s[46:47]
	s_cbranch_vccnz .LBB4_8
; %bb.10:                               ;   in Loop: Header=BB4_9 Depth=3
	v_add_u32_e32 v21, s72, v19
	v_cmp_lt_i32_e32 vcc, -1, v21
	s_and_b64 s[60:61], s[2:3], vcc
	v_cmp_gt_i32_e32 vcc, s10, v21
	v_mov_b32_e32 v21, v18
	s_mov_b32 s73, s22
	s_branch .LBB4_12
.LBB4_11:                               ;   in Loop: Header=BB4_12 Depth=4
	s_or_b64 exec, exec, s[6:7]
	v_add_co_u32_e64 v6, s[6:7], 4, v6
	v_addc_co_u32_e64 v7, s[6:7], 0, v7, s[6:7]
	v_add_co_u32_e64 v4, s[6:7], 4, v4
	s_add_i32 s73, s73, -1
	v_addc_co_u32_e64 v5, s[6:7], 0, v5, s[6:7]
	s_cmp_eq_u32 s73, 0
	v_add_u32_e32 v21, 1, v21
	s_cbranch_scc1 .LBB4_8
.LBB4_12:                               ;   Parent Loop BB4_3 Depth=1
                                        ;     Parent Loop BB4_6 Depth=2
                                        ;       Parent Loop BB4_9 Depth=3
                                        ; =>      This Inner Loop Header: Depth=4
	v_cmp_lt_i32_e64 s[6:7], -1, v21
	s_and_b64 s[6:7], s[60:61], s[6:7]
	s_and_b64 s[6:7], s[6:7], s[4:5]
	s_and_b64 s[74:75], s[6:7], vcc
	v_cmp_gt_i32_e64 s[6:7], s11, v21
	s_and_b64 s[74:75], s[74:75], s[6:7]
	s_and_saveexec_b64 s[6:7], s[74:75]
	s_cbranch_execz .LBB4_11
; %bb.13:                               ;   in Loop: Header=BB4_12 Depth=4
	global_load_dword v22, v[6:7], off
	global_load_dword v23, v[4:5], off
	s_waitcnt vmcnt(0)
	v_fmac_f32_e32 v17, v22, v23
	s_branch .LBB4_11
.LBB4_14:                               ;   in Loop: Header=BB4_3 Depth=1
	v_mov_b32_e32 v17, 0
.LBB4_15:                               ;   in Loop: Header=BB4_3 Depth=1
	s_and_b64 vcc, exec, s[48:49]
	s_cbranch_vccz .LBB4_2
; %bb.16:                               ;   in Loop: Header=BB4_3 Depth=1
	v_lshlrev_b64 v[3:4], 2, v[2:3]
	v_mov_b32_e32 v5, s39
	v_add_co_u32_e32 v3, vcc, s38, v3
	v_addc_co_u32_e32 v4, vcc, v5, v4, vcc
	global_load_dword v3, v[3:4], off
	s_waitcnt vmcnt(0)
	v_add_f32_e32 v17, v17, v3
	s_branch .LBB4_2
.LBB4_17:
	s_endpgm
	.section	.rodata,"a",@progbits
	.p2align	6, 0x0
	.amdhsa_kernel _ZN2at6native12_GLOBAL__N_128conv_depthwise3d_cuda_kernelIffLin1ELin1ELin1ELi1ELi1ELi1EEEvN5torch10headeronly6detail27GenericPackedTensorAccessorINS5_14TensorAccessorIN3c108ArrayRefIlEEKT_Lm4ENS4_16DefaultPtrTraitsEiEENS_6detail16IndexBoundsCheckILm5EiEESC_Lm5ESD_iEENS6_INS7_ISA_SB_Lm4ESD_iEESH_SB_Lm5ESD_iEESI_PSC_iiiiiiiii
		.amdhsa_group_segment_fixed_size 0
		.amdhsa_private_segment_fixed_size 0
		.amdhsa_kernarg_size 448
		.amdhsa_user_sgpr_count 6
		.amdhsa_user_sgpr_private_segment_buffer 1
		.amdhsa_user_sgpr_dispatch_ptr 0
		.amdhsa_user_sgpr_queue_ptr 0
		.amdhsa_user_sgpr_kernarg_segment_ptr 1
		.amdhsa_user_sgpr_dispatch_id 0
		.amdhsa_user_sgpr_flat_scratch_init 0
		.amdhsa_user_sgpr_private_segment_size 0
		.amdhsa_uses_dynamic_stack 0
		.amdhsa_system_sgpr_private_segment_wavefront_offset 0
		.amdhsa_system_sgpr_workgroup_id_x 1
		.amdhsa_system_sgpr_workgroup_id_y 0
		.amdhsa_system_sgpr_workgroup_id_z 0
		.amdhsa_system_sgpr_workgroup_info 0
		.amdhsa_system_vgpr_workitem_id 0
		.amdhsa_next_free_vgpr 24
		.amdhsa_next_free_sgpr 76
		.amdhsa_reserve_vcc 1
		.amdhsa_reserve_flat_scratch 0
		.amdhsa_float_round_mode_32 0
		.amdhsa_float_round_mode_16_64 0
		.amdhsa_float_denorm_mode_32 3
		.amdhsa_float_denorm_mode_16_64 3
		.amdhsa_dx10_clamp 1
		.amdhsa_ieee_mode 1
		.amdhsa_fp16_overflow 0
		.amdhsa_exception_fp_ieee_invalid_op 0
		.amdhsa_exception_fp_denorm_src 0
		.amdhsa_exception_fp_ieee_div_zero 0
		.amdhsa_exception_fp_ieee_overflow 0
		.amdhsa_exception_fp_ieee_underflow 0
		.amdhsa_exception_fp_ieee_inexact 0
		.amdhsa_exception_int_div_zero 0
	.end_amdhsa_kernel
	.section	.text._ZN2at6native12_GLOBAL__N_128conv_depthwise3d_cuda_kernelIffLin1ELin1ELin1ELi1ELi1ELi1EEEvN5torch10headeronly6detail27GenericPackedTensorAccessorINS5_14TensorAccessorIN3c108ArrayRefIlEEKT_Lm4ENS4_16DefaultPtrTraitsEiEENS_6detail16IndexBoundsCheckILm5EiEESC_Lm5ESD_iEENS6_INS7_ISA_SB_Lm4ESD_iEESH_SB_Lm5ESD_iEESI_PSC_iiiiiiiii,"axG",@progbits,_ZN2at6native12_GLOBAL__N_128conv_depthwise3d_cuda_kernelIffLin1ELin1ELin1ELi1ELi1ELi1EEEvN5torch10headeronly6detail27GenericPackedTensorAccessorINS5_14TensorAccessorIN3c108ArrayRefIlEEKT_Lm4ENS4_16DefaultPtrTraitsEiEENS_6detail16IndexBoundsCheckILm5EiEESC_Lm5ESD_iEENS6_INS7_ISA_SB_Lm4ESD_iEESH_SB_Lm5ESD_iEESI_PSC_iiiiiiiii,comdat
.Lfunc_end4:
	.size	_ZN2at6native12_GLOBAL__N_128conv_depthwise3d_cuda_kernelIffLin1ELin1ELin1ELi1ELi1ELi1EEEvN5torch10headeronly6detail27GenericPackedTensorAccessorINS5_14TensorAccessorIN3c108ArrayRefIlEEKT_Lm4ENS4_16DefaultPtrTraitsEiEENS_6detail16IndexBoundsCheckILm5EiEESC_Lm5ESD_iEENS6_INS7_ISA_SB_Lm4ESD_iEESH_SB_Lm5ESD_iEESI_PSC_iiiiiiiii, .Lfunc_end4-_ZN2at6native12_GLOBAL__N_128conv_depthwise3d_cuda_kernelIffLin1ELin1ELin1ELi1ELi1ELi1EEEvN5torch10headeronly6detail27GenericPackedTensorAccessorINS5_14TensorAccessorIN3c108ArrayRefIlEEKT_Lm4ENS4_16DefaultPtrTraitsEiEENS_6detail16IndexBoundsCheckILm5EiEESC_Lm5ESD_iEENS6_INS7_ISA_SB_Lm4ESD_iEESH_SB_Lm5ESD_iEESI_PSC_iiiiiiiii
                                        ; -- End function
	.set _ZN2at6native12_GLOBAL__N_128conv_depthwise3d_cuda_kernelIffLin1ELin1ELin1ELi1ELi1ELi1EEEvN5torch10headeronly6detail27GenericPackedTensorAccessorINS5_14TensorAccessorIN3c108ArrayRefIlEEKT_Lm4ENS4_16DefaultPtrTraitsEiEENS_6detail16IndexBoundsCheckILm5EiEESC_Lm5ESD_iEENS6_INS7_ISA_SB_Lm4ESD_iEESH_SB_Lm5ESD_iEESI_PSC_iiiiiiiii.num_vgpr, 24
	.set _ZN2at6native12_GLOBAL__N_128conv_depthwise3d_cuda_kernelIffLin1ELin1ELin1ELi1ELi1ELi1EEEvN5torch10headeronly6detail27GenericPackedTensorAccessorINS5_14TensorAccessorIN3c108ArrayRefIlEEKT_Lm4ENS4_16DefaultPtrTraitsEiEENS_6detail16IndexBoundsCheckILm5EiEESC_Lm5ESD_iEENS6_INS7_ISA_SB_Lm4ESD_iEESH_SB_Lm5ESD_iEESI_PSC_iiiiiiiii.num_agpr, 0
	.set _ZN2at6native12_GLOBAL__N_128conv_depthwise3d_cuda_kernelIffLin1ELin1ELin1ELi1ELi1ELi1EEEvN5torch10headeronly6detail27GenericPackedTensorAccessorINS5_14TensorAccessorIN3c108ArrayRefIlEEKT_Lm4ENS4_16DefaultPtrTraitsEiEENS_6detail16IndexBoundsCheckILm5EiEESC_Lm5ESD_iEENS6_INS7_ISA_SB_Lm4ESD_iEESH_SB_Lm5ESD_iEESI_PSC_iiiiiiiii.numbered_sgpr, 76
	.set _ZN2at6native12_GLOBAL__N_128conv_depthwise3d_cuda_kernelIffLin1ELin1ELin1ELi1ELi1ELi1EEEvN5torch10headeronly6detail27GenericPackedTensorAccessorINS5_14TensorAccessorIN3c108ArrayRefIlEEKT_Lm4ENS4_16DefaultPtrTraitsEiEENS_6detail16IndexBoundsCheckILm5EiEESC_Lm5ESD_iEENS6_INS7_ISA_SB_Lm4ESD_iEESH_SB_Lm5ESD_iEESI_PSC_iiiiiiiii.num_named_barrier, 0
	.set _ZN2at6native12_GLOBAL__N_128conv_depthwise3d_cuda_kernelIffLin1ELin1ELin1ELi1ELi1ELi1EEEvN5torch10headeronly6detail27GenericPackedTensorAccessorINS5_14TensorAccessorIN3c108ArrayRefIlEEKT_Lm4ENS4_16DefaultPtrTraitsEiEENS_6detail16IndexBoundsCheckILm5EiEESC_Lm5ESD_iEENS6_INS7_ISA_SB_Lm4ESD_iEESH_SB_Lm5ESD_iEESI_PSC_iiiiiiiii.private_seg_size, 0
	.set _ZN2at6native12_GLOBAL__N_128conv_depthwise3d_cuda_kernelIffLin1ELin1ELin1ELi1ELi1ELi1EEEvN5torch10headeronly6detail27GenericPackedTensorAccessorINS5_14TensorAccessorIN3c108ArrayRefIlEEKT_Lm4ENS4_16DefaultPtrTraitsEiEENS_6detail16IndexBoundsCheckILm5EiEESC_Lm5ESD_iEENS6_INS7_ISA_SB_Lm4ESD_iEESH_SB_Lm5ESD_iEESI_PSC_iiiiiiiii.uses_vcc, 1
	.set _ZN2at6native12_GLOBAL__N_128conv_depthwise3d_cuda_kernelIffLin1ELin1ELin1ELi1ELi1ELi1EEEvN5torch10headeronly6detail27GenericPackedTensorAccessorINS5_14TensorAccessorIN3c108ArrayRefIlEEKT_Lm4ENS4_16DefaultPtrTraitsEiEENS_6detail16IndexBoundsCheckILm5EiEESC_Lm5ESD_iEENS6_INS7_ISA_SB_Lm4ESD_iEESH_SB_Lm5ESD_iEESI_PSC_iiiiiiiii.uses_flat_scratch, 0
	.set _ZN2at6native12_GLOBAL__N_128conv_depthwise3d_cuda_kernelIffLin1ELin1ELin1ELi1ELi1ELi1EEEvN5torch10headeronly6detail27GenericPackedTensorAccessorINS5_14TensorAccessorIN3c108ArrayRefIlEEKT_Lm4ENS4_16DefaultPtrTraitsEiEENS_6detail16IndexBoundsCheckILm5EiEESC_Lm5ESD_iEENS6_INS7_ISA_SB_Lm4ESD_iEESH_SB_Lm5ESD_iEESI_PSC_iiiiiiiii.has_dyn_sized_stack, 0
	.set _ZN2at6native12_GLOBAL__N_128conv_depthwise3d_cuda_kernelIffLin1ELin1ELin1ELi1ELi1ELi1EEEvN5torch10headeronly6detail27GenericPackedTensorAccessorINS5_14TensorAccessorIN3c108ArrayRefIlEEKT_Lm4ENS4_16DefaultPtrTraitsEiEENS_6detail16IndexBoundsCheckILm5EiEESC_Lm5ESD_iEENS6_INS7_ISA_SB_Lm4ESD_iEESH_SB_Lm5ESD_iEESI_PSC_iiiiiiiii.has_recursion, 0
	.set _ZN2at6native12_GLOBAL__N_128conv_depthwise3d_cuda_kernelIffLin1ELin1ELin1ELi1ELi1ELi1EEEvN5torch10headeronly6detail27GenericPackedTensorAccessorINS5_14TensorAccessorIN3c108ArrayRefIlEEKT_Lm4ENS4_16DefaultPtrTraitsEiEENS_6detail16IndexBoundsCheckILm5EiEESC_Lm5ESD_iEENS6_INS7_ISA_SB_Lm4ESD_iEESH_SB_Lm5ESD_iEESI_PSC_iiiiiiiii.has_indirect_call, 0
	.section	.AMDGPU.csdata,"",@progbits
; Kernel info:
; codeLenInByte = 1788
; TotalNumSgprs: 80
; NumVgprs: 24
; ScratchSize: 0
; MemoryBound: 0
; FloatMode: 240
; IeeeMode: 1
; LDSByteSize: 0 bytes/workgroup (compile time only)
; SGPRBlocks: 9
; VGPRBlocks: 5
; NumSGPRsForWavesPerEU: 80
; NumVGPRsForWavesPerEU: 24
; Occupancy: 10
; WaveLimiterHint : 0
; COMPUTE_PGM_RSRC2:SCRATCH_EN: 0
; COMPUTE_PGM_RSRC2:USER_SGPR: 6
; COMPUTE_PGM_RSRC2:TRAP_HANDLER: 0
; COMPUTE_PGM_RSRC2:TGID_X_EN: 1
; COMPUTE_PGM_RSRC2:TGID_Y_EN: 0
; COMPUTE_PGM_RSRC2:TGID_Z_EN: 0
; COMPUTE_PGM_RSRC2:TIDIG_COMP_CNT: 0
	.section	.text._ZN2at6native12_GLOBAL__N_128conv_depthwise3d_cuda_kernelIffLin1ELin1ELin1ELin1ELin1ELin1EEEvN5torch10headeronly6detail27GenericPackedTensorAccessorINS5_14TensorAccessorIN3c108ArrayRefIlEEKT_Lm4ENS4_16DefaultPtrTraitsEiEENS_6detail16IndexBoundsCheckILm5EiEESC_Lm5ESD_iEENS6_INS7_ISA_SB_Lm4ESD_iEESH_SB_Lm5ESD_iEESI_PSC_iiiiiiiii,"axG",@progbits,_ZN2at6native12_GLOBAL__N_128conv_depthwise3d_cuda_kernelIffLin1ELin1ELin1ELin1ELin1ELin1EEEvN5torch10headeronly6detail27GenericPackedTensorAccessorINS5_14TensorAccessorIN3c108ArrayRefIlEEKT_Lm4ENS4_16DefaultPtrTraitsEiEENS_6detail16IndexBoundsCheckILm5EiEESC_Lm5ESD_iEENS6_INS7_ISA_SB_Lm4ESD_iEESH_SB_Lm5ESD_iEESI_PSC_iiiiiiiii,comdat
	.globl	_ZN2at6native12_GLOBAL__N_128conv_depthwise3d_cuda_kernelIffLin1ELin1ELin1ELin1ELin1ELin1EEEvN5torch10headeronly6detail27GenericPackedTensorAccessorINS5_14TensorAccessorIN3c108ArrayRefIlEEKT_Lm4ENS4_16DefaultPtrTraitsEiEENS_6detail16IndexBoundsCheckILm5EiEESC_Lm5ESD_iEENS6_INS7_ISA_SB_Lm4ESD_iEESH_SB_Lm5ESD_iEESI_PSC_iiiiiiiii ; -- Begin function _ZN2at6native12_GLOBAL__N_128conv_depthwise3d_cuda_kernelIffLin1ELin1ELin1ELin1ELin1ELin1EEEvN5torch10headeronly6detail27GenericPackedTensorAccessorINS5_14TensorAccessorIN3c108ArrayRefIlEEKT_Lm4ENS4_16DefaultPtrTraitsEiEENS_6detail16IndexBoundsCheckILm5EiEESC_Lm5ESD_iEENS6_INS7_ISA_SB_Lm4ESD_iEESH_SB_Lm5ESD_iEESI_PSC_iiiiiiiii
	.p2align	8
	.type	_ZN2at6native12_GLOBAL__N_128conv_depthwise3d_cuda_kernelIffLin1ELin1ELin1ELin1ELin1ELin1EEEvN5torch10headeronly6detail27GenericPackedTensorAccessorINS5_14TensorAccessorIN3c108ArrayRefIlEEKT_Lm4ENS4_16DefaultPtrTraitsEiEENS_6detail16IndexBoundsCheckILm5EiEESC_Lm5ESD_iEENS6_INS7_ISA_SB_Lm4ESD_iEESH_SB_Lm5ESD_iEESI_PSC_iiiiiiiii,@function
_ZN2at6native12_GLOBAL__N_128conv_depthwise3d_cuda_kernelIffLin1ELin1ELin1ELin1ELin1ELin1EEEvN5torch10headeronly6detail27GenericPackedTensorAccessorINS5_14TensorAccessorIN3c108ArrayRefIlEEKT_Lm4ENS4_16DefaultPtrTraitsEiEENS_6detail16IndexBoundsCheckILm5EiEESC_Lm5ESD_iEENS6_INS7_ISA_SB_Lm4ESD_iEESH_SB_Lm5ESD_iEESI_PSC_iiiiiiiii: ; @_ZN2at6native12_GLOBAL__N_128conv_depthwise3d_cuda_kernelIffLin1ELin1ELin1ELin1ELin1ELin1EEEvN5torch10headeronly6detail27GenericPackedTensorAccessorINS5_14TensorAccessorIN3c108ArrayRefIlEEKT_Lm4ENS4_16DefaultPtrTraitsEiEENS_6detail16IndexBoundsCheckILm5EiEESC_Lm5ESD_iEENS6_INS7_ISA_SB_Lm4ESD_iEESH_SB_Lm5ESD_iEESI_PSC_iiiiiiiii
; %bb.0:
	s_load_dwordx4 s[16:19], s[4:5], 0xc
	s_load_dwordx4 s[20:23], s[4:5], 0x38
	s_load_dwordx2 s[34:35], s[4:5], 0x48
	s_load_dword s1, s[4:5], 0xcc
	v_mov_b32_e32 v1, 0
	v_mov_b32_e32 v3, s6
	s_waitcnt lgkmcnt(0)
	s_abs_i32 s0, s16
	v_cvt_f32_u32_e32 v2, s0
	s_add_u32 s2, s4, 0xc0
	s_addc_u32 s3, s5, 0
	s_and_b32 s36, s1, 0xffff
	v_rcp_iflag_f32_e32 v2, v2
	v_mad_u64_u32 v[0:1], s[6:7], s36, v3, v[0:1]
	s_mul_i32 s6, s35, s20
	v_mul_f32_e32 v2, 0x4f7ffffe, v2
	v_cvt_u32_f32_e32 v2, v2
	s_ashr_i32 s7, s6, 31
	v_cmp_gt_i64_e32 vcc, s[6:7], v[0:1]
	v_readfirstlane_b32 s1, v2
	s_and_saveexec_b64 s[8:9], vcc
	s_cbranch_execz .LBB5_17
; %bb.1:
	s_sub_i32 s8, 0, s0
	s_mul_i32 s8, s8, s1
	s_mul_hi_u32 s8, s1, s8
	s_ashr_i32 s28, s16, 31
	s_abs_i32 s16, s21
	s_add_i32 s1, s1, s8
	s_ashr_i32 s20, s21, 31
	s_mul_hi_u32 s1, s16, s1
	s_load_dwordx2 s[40:41], s[4:5], 0x90
	s_load_dwordx8 s[8:15], s[4:5], 0x98
	s_load_dword s42, s[4:5], 0xb8
	s_load_dwordx4 s[24:27], s[4:5], 0x70
	s_waitcnt lgkmcnt(0)
	s_xor_b32 s27, s20, s28
	s_mul_i32 s28, s1, s0
	s_sub_i32 s28, s16, s28
	s_add_i32 s29, s1, 1
	s_sub_i32 s30, s28, s0
	s_cmp_ge_u32 s28, s0
	s_cselect_b32 s1, s29, s1
	s_cselect_b32 s28, s30, s28
	s_add_i32 s29, s1, 1
	s_cmp_ge_u32 s28, s0
	s_cselect_b32 s0, s29, s1
	s_xor_b32 s0, s0, s27
	s_sub_i32 s37, s0, s27
	s_cmp_gt_i32 s24, 0
	s_cselect_b64 s[44:45], -1, 0
	s_cmp_gt_i32 s25, 0
	s_cselect_b64 s[46:47], -1, 0
	s_cmp_gt_i32 s26, 0
	s_mul_i32 s28, s18, s14
	s_mul_i32 s29, s25, s15
	s_cselect_b64 s[48:49], -1, 0
	s_mul_i32 s0, s19, s15
	s_mul_i32 s1, s26, s42
	s_sub_i32 s28, s28, s29
	s_sub_i32 s0, s0, s1
	s_mul_i32 s38, s28, s19
	s_ashr_i32 s43, s42, 31
	s_ashr_i32 s1, s0, 31
	;; [unrolled: 1-line block ×3, first 2 shown]
	s_cmp_lg_u64 s[40:41], 0
	s_cselect_b64 s[50:51], -1, 0
	s_abs_i32 s33, s34
	v_cvt_f32_u32_e32 v2, s33
	s_abs_i32 s68, s23
	v_cvt_f32_u32_e32 v3, s68
	s_load_dword s2, s[2:3], 0x0
	s_nop 0
	s_load_dwordx2 s[52:53], s[4:5], 0x0
	s_load_dwordx4 s[28:31], s[4:5], 0x1c
	v_rcp_iflag_f32_e32 v2, v2
	s_abs_i32 s71, s22
	v_rcp_iflag_f32_e32 v3, v3
	s_waitcnt lgkmcnt(0)
	s_mul_i32 s70, s2, s36
	v_mul_f32_e32 v2, 0x4f7ffffe, v2
	v_cvt_u32_f32_e32 v2, v2
	s_sub_i32 s2, 0, s33
	v_mul_f32_e32 v3, 0x4f7ffffe, v3
	v_cvt_f32_u32_e32 v5, s71
	v_mul_lo_u32 v4, s2, v2
	v_cvt_u32_f32_e32 v3, v3
	s_sub_i32 s2, 0, s68
	v_rcp_iflag_f32_e32 v5, v5
	v_mul_hi_u32 v4, v2, v4
	v_mul_lo_u32 v6, s2, v3
	s_abs_i32 s73, s37
	s_sub_i32 s2, 0, s71
	v_add_u32_e32 v8, v2, v4
	v_mul_f32_e32 v4, 0x4f7ffffe, v5
	v_cvt_f32_u32_e32 v5, s16
	v_mul_hi_u32 v2, v3, v6
	v_cvt_f32_u32_e32 v6, s73
	v_cvt_u32_f32_e32 v4, v4
	v_rcp_iflag_f32_e32 v5, v5
	s_load_dword s27, s[4:5], 0x7c
	v_rcp_iflag_f32_e32 v6, v6
	v_mul_lo_u32 v7, s2, v4
	v_mul_f32_e32 v5, 0x4f7ffffe, v5
	v_cvt_u32_f32_e32 v5, v5
	v_mul_f32_e32 v6, 0x4f7ffffe, v6
	v_cvt_u32_f32_e32 v6, v6
	s_sub_i32 s2, 0, s16
	v_mul_lo_u32 v10, s2, v5
	s_sub_i32 s2, 0, s73
	v_mul_lo_u32 v11, s2, v6
	s_load_dword s69, s[4:5], 0x2c
	s_load_dwordx2 s[54:55], s[4:5], 0x30
	v_add_u32_e32 v9, v3, v2
	v_mul_hi_u32 v2, v4, v7
	v_mul_hi_u32 v3, v5, v10
	;; [unrolled: 1-line block ×3, first 2 shown]
	s_ashr_i32 s76, s37, 31
	s_lshl_b64 s[58:59], s[38:39], 2
	s_load_dwordx2 s[60:61], s[4:5], 0x60
	s_load_dwordx4 s[36:39], s[4:5], 0x50
	s_ashr_i32 s72, s34, 31
	s_ashr_i32 s74, s23, 31
	;; [unrolled: 1-line block ×3, first 2 shown]
	v_add_u32_e32 v10, v4, v2
	v_add_u32_e32 v11, v5, v3
	v_add_u32_e32 v12, v6, v7
	s_lshl_b64 s[56:57], s[0:1], 2
	s_mov_b64 s[62:63], 0
	s_lshl_b64 s[64:65], s[42:43], 2
	s_branch .LBB5_3
.LBB5_2:                                ;   in Loop: Header=BB5_3 Depth=1
	v_mul_lo_u32 v3, v16, s35
	s_waitcnt lgkmcnt(0)
	v_mul_lo_u32 v2, s36, v2
	v_mov_b32_e32 v5, s55
	v_ashrrev_i32_e32 v4, 31, v3
	v_lshlrev_b64 v[3:4], 2, v[3:4]
	v_add_co_u32_e32 v6, vcc, s54, v3
	v_addc_co_u32_e32 v5, vcc, v5, v4, vcc
	v_ashrrev_i32_e32 v3, 31, v2
	v_mul_lo_u32 v4, s37, v15
	v_lshlrev_b64 v[2:3], 2, v[2:3]
	v_add_co_u32_e32 v6, vcc, v6, v2
	v_addc_co_u32_e32 v7, vcc, v5, v3, vcc
	v_ashrrev_i32_e32 v5, 31, v4
	v_lshlrev_b64 v[2:3], 2, v[4:5]
	v_mul_lo_u32 v4, s38, v14
	v_add_co_u32_e32 v6, vcc, v6, v2
	v_addc_co_u32_e32 v7, vcc, v7, v3, vcc
	v_ashrrev_i32_e32 v5, 31, v4
	v_lshlrev_b64 v[2:3], 2, v[4:5]
	v_mul_lo_u32 v4, s39, v13
	v_add_co_u32_e32 v6, vcc, v6, v2
	v_addc_co_u32_e32 v7, vcc, v7, v3, vcc
	v_ashrrev_i32_e32 v5, 31, v4
	v_add_co_u32_e32 v0, vcc, s70, v0
	v_lshlrev_b64 v[2:3], 2, v[4:5]
	v_addc_co_u32_e32 v1, vcc, 0, v1, vcc
	v_cmp_le_i64_e32 vcc, s[6:7], v[0:1]
	v_add_co_u32_e64 v2, s[0:1], v6, v2
	v_addc_co_u32_e64 v3, s[0:1], v7, v3, s[0:1]
	s_or_b64 s[62:63], vcc, s[62:63]
	global_store_dword v[2:3], v20, off
	s_andn2_b64 exec, exec, s[62:63]
	s_cbranch_execz .LBB5_17
.LBB5_3:                                ; =>This Loop Header: Depth=1
                                        ;     Child Loop BB5_6 Depth 2
                                        ;       Child Loop BB5_9 Depth 3
                                        ;         Child Loop BB5_12 Depth 4
	v_sub_u32_e32 v2, 0, v0
	v_max_i32_e32 v2, v0, v2
	v_mul_hi_u32 v3, v2, v8
	v_ashrrev_i32_e32 v5, 31, v0
	v_xor_b32_e32 v5, s72, v5
	v_mul_lo_u32 v4, v3, s33
	v_add_u32_e32 v6, 1, v3
	v_sub_u32_e32 v2, v2, v4
	v_cmp_le_u32_e32 vcc, s33, v2
	v_subrev_u32_e32 v4, s33, v2
	v_cndmask_b32_e32 v3, v3, v6, vcc
	v_cndmask_b32_e32 v2, v2, v4, vcc
	v_add_u32_e32 v4, 1, v3
	v_cmp_le_u32_e32 vcc, s33, v2
	v_cndmask_b32_e32 v2, v3, v4, vcc
	v_xor_b32_e32 v2, v2, v5
	v_sub_u32_e32 v2, v2, v5
	v_sub_u32_e32 v3, 0, v2
	v_max_i32_e32 v3, v2, v3
	v_mul_hi_u32 v4, v3, v9
	v_ashrrev_i32_e32 v6, 31, v2
	v_xor_b32_e32 v6, s74, v6
	v_mul_lo_u32 v5, v4, s68
	v_add_u32_e32 v7, 1, v4
	v_sub_u32_e32 v3, v3, v5
	v_cmp_le_u32_e32 vcc, s68, v3
	v_subrev_u32_e32 v5, s68, v3
	v_cndmask_b32_e32 v4, v4, v7, vcc
	v_cndmask_b32_e32 v3, v3, v5, vcc
	v_add_u32_e32 v5, 1, v4
	v_cmp_le_u32_e32 vcc, s68, v3
	v_cndmask_b32_e32 v3, v4, v5, vcc
	v_xor_b32_e32 v3, v3, v6
	v_sub_u32_e32 v3, v3, v6
	v_sub_u32_e32 v4, 0, v3
	v_max_i32_e32 v4, v3, v4
	v_mul_hi_u32 v5, v4, v10
	v_ashrrev_i32_e32 v7, 31, v3
	v_xor_b32_e32 v7, s75, v7
	v_mul_lo_u32 v14, v3, s23
	v_mul_lo_u32 v6, v5, s71
	v_add_u32_e32 v13, 1, v5
	v_sub_u32_e32 v14, v2, v14
	v_sub_u32_e32 v4, v4, v6
	v_cmp_le_u32_e32 vcc, s71, v4
	v_subrev_u32_e32 v6, s71, v4
	v_cndmask_b32_e32 v5, v5, v13, vcc
	v_cndmask_b32_e32 v4, v4, v6, vcc
	v_add_u32_e32 v6, 1, v5
	v_cmp_le_u32_e32 vcc, s71, v4
	v_cndmask_b32_e32 v4, v5, v6, vcc
	v_xor_b32_e32 v4, v4, v7
	v_sub_u32_e32 v4, v4, v7
	v_sub_u32_e32 v5, 0, v4
	v_max_i32_e32 v5, v4, v5
	v_mul_hi_u32 v6, v5, v11
	v_ashrrev_i32_e32 v16, 31, v4
	v_xor_b32_e32 v16, s20, v16
	v_mul_lo_u32 v7, v2, s34
	v_mul_lo_u32 v13, v6, s16
	;; [unrolled: 1-line block ×3, first 2 shown]
	v_sub_u32_e32 v5, v5, v13
	v_add_u32_e32 v13, 1, v6
	v_cmp_le_u32_e32 vcc, s16, v5
	v_cndmask_b32_e32 v6, v6, v13, vcc
	v_subrev_u32_e32 v13, s16, v5
	v_cndmask_b32_e32 v5, v5, v13, vcc
	v_add_u32_e32 v13, 1, v6
	v_cmp_le_u32_e32 vcc, s16, v5
	v_cndmask_b32_e32 v5, v6, v13, vcc
	v_xor_b32_e32 v5, v5, v16
	v_sub_u32_e32 v16, v5, v16
	v_mul_lo_u32 v5, v16, s21
	v_sub_u32_e32 v13, v0, v7
	v_sub_u32_e32 v15, v3, v15
	s_andn2_b64 vcc, exec, s[44:45]
	v_sub_u32_e32 v2, v4, v5
	v_ashrrev_i32_e32 v3, 31, v2
	s_cbranch_vccnz .LBB5_14
; %bb.4:                                ;   in Loop: Header=BB5_3 Depth=1
	v_mul_lo_u32 v4, v13, s10
	s_mov_b32 s43, 0
	v_subrev_u32_e32 v17, s13, v4
	v_mul_lo_u32 v4, v14, s9
	v_subrev_u32_e32 v18, s12, v4
	v_mul_lo_u32 v4, v15, s8
	;; [unrolled: 2-line block ×3, first 2 shown]
	v_ashrrev_i32_e32 v5, 31, v4
	v_lshlrev_b64 v[4:5], 2, v[4:5]
	v_add_co_u32_e32 v6, vcc, s52, v4
	v_mov_b32_e32 v4, s53
	v_addc_co_u32_e32 v7, vcc, v4, v5, vcc
	v_sub_u32_e32 v5, 0, v2
	v_max_i32_e32 v5, v2, v5
	v_mul_hi_u32 v20, v5, v12
	v_xor_b32_e32 v4, s76, v3
	v_mul_lo_u32 v21, v20, s73
	v_sub_u32_e32 v5, v5, v21
	v_cmp_le_u32_e32 vcc, s73, v5
	v_add_u32_e32 v21, 1, v20
	v_cndmask_b32_e32 v20, v20, v21, vcc
	v_subrev_u32_e32 v21, s73, v5
	v_cndmask_b32_e32 v5, v5, v21, vcc
	v_cmp_le_u32_e32 vcc, s73, v5
	v_add_u32_e32 v5, 1, v20
	v_cndmask_b32_e32 v5, v20, v5, vcc
	v_xor_b32_e32 v5, v5, v4
	v_sub_u32_e32 v4, v5, v4
	v_mul_lo_u32 v4, s29, v4
	s_waitcnt lgkmcnt(0)
	v_mov_b32_e32 v20, s61
	v_ashrrev_i32_e32 v5, 31, v4
	v_lshlrev_b64 v[4:5], 2, v[4:5]
	v_add_co_u32_e32 v6, vcc, v6, v4
	v_mul_lo_u32 v4, s30, v19
	v_addc_co_u32_e32 v7, vcc, v7, v5, vcc
	v_ashrrev_i32_e32 v5, 31, v4
	v_lshlrev_b64 v[4:5], 2, v[4:5]
	v_add_co_u32_e32 v6, vcc, v6, v4
	v_mul_lo_u32 v4, s31, v18
	v_addc_co_u32_e32 v7, vcc, v7, v5, vcc
	;; [unrolled: 5-line block ×4, first 2 shown]
	v_ashrrev_i32_e32 v7, 31, v6
	v_lshlrev_b64 v[6:7], 2, v[6:7]
	v_add_co_u32_e32 v6, vcc, s60, v6
	v_addc_co_u32_e32 v7, vcc, v20, v7, vcc
	v_mov_b32_e32 v20, 0
	s_branch .LBB5_6
.LBB5_5:                                ;   in Loop: Header=BB5_6 Depth=2
	v_mov_b32_e32 v21, s59
	s_add_i32 s43, s43, 1
	v_add_co_u32_e32 v4, vcc, s58, v4
	s_cmp_eq_u32 s43, s24
	v_addc_co_u32_e32 v5, vcc, v5, v21, vcc
	s_cbranch_scc1 .LBB5_15
.LBB5_6:                                ;   Parent Loop BB5_3 Depth=1
                                        ; =>  This Loop Header: Depth=2
                                        ;       Child Loop BB5_9 Depth 3
                                        ;         Child Loop BB5_12 Depth 4
	s_andn2_b64 vcc, exec, s[46:47]
	s_cbranch_vccnz .LBB5_5
; %bb.7:                                ;   in Loop: Header=BB5_6 Depth=2
	s_mul_i32 s0, s43, s14
	v_add_u32_e32 v21, s0, v19
	v_cmp_lt_i32_e64 s[0:1], -1, v21
	v_cmp_gt_i32_e64 s[2:3], s17, v21
	s_mov_b32 s77, 0
	s_branch .LBB5_9
.LBB5_8:                                ;   in Loop: Header=BB5_9 Depth=3
	v_mov_b32_e32 v21, s57
	s_add_i32 s77, s77, 1
	v_add_co_u32_e32 v4, vcc, s56, v4
	s_cmp_eq_u32 s77, s25
	v_addc_co_u32_e32 v5, vcc, v5, v21, vcc
	s_cbranch_scc1 .LBB5_5
.LBB5_9:                                ;   Parent Loop BB5_3 Depth=1
                                        ;     Parent Loop BB5_6 Depth=2
                                        ; =>    This Loop Header: Depth=3
                                        ;         Child Loop BB5_12 Depth 4
	s_andn2_b64 vcc, exec, s[48:49]
	s_cbranch_vccnz .LBB5_8
; %bb.10:                               ;   in Loop: Header=BB5_9 Depth=3
	s_mul_i32 s4, s77, s15
	v_add_u32_e32 v21, s4, v18
	v_cmp_lt_i32_e32 vcc, -1, v21
	s_and_b64 s[66:67], s[0:1], vcc
	v_cmp_gt_i32_e32 vcc, s18, v21
	v_mov_b32_e32 v21, v17
	s_mov_b32 s78, s26
	s_branch .LBB5_12
.LBB5_11:                               ;   in Loop: Header=BB5_12 Depth=4
	s_or_b64 exec, exec, s[4:5]
	v_add_co_u32_e64 v6, s[4:5], 4, v6
	v_addc_co_u32_e64 v7, s[4:5], 0, v7, s[4:5]
	s_add_i32 s78, s78, -1
	v_mov_b32_e32 v22, s65
	v_add_co_u32_e64 v4, s[4:5], s64, v4
	v_add_u32_e32 v21, s42, v21
	s_cmp_eq_u32 s78, 0
	v_addc_co_u32_e64 v5, s[4:5], v5, v22, s[4:5]
	s_cbranch_scc1 .LBB5_8
.LBB5_12:                               ;   Parent Loop BB5_3 Depth=1
                                        ;     Parent Loop BB5_6 Depth=2
                                        ;       Parent Loop BB5_9 Depth=3
                                        ; =>      This Inner Loop Header: Depth=4
	v_cmp_lt_i32_e64 s[4:5], -1, v21
	s_and_b64 s[4:5], s[66:67], s[4:5]
	s_and_b64 s[4:5], s[4:5], s[2:3]
	s_and_b64 s[80:81], s[4:5], vcc
	v_cmp_gt_i32_e64 s[4:5], s19, v21
	s_and_b64 s[80:81], s[80:81], s[4:5]
	s_and_saveexec_b64 s[4:5], s[80:81]
	s_cbranch_execz .LBB5_11
; %bb.13:                               ;   in Loop: Header=BB5_12 Depth=4
	global_load_dword v22, v[6:7], off
	global_load_dword v23, v[4:5], off
	s_waitcnt vmcnt(0)
	v_fmac_f32_e32 v20, v22, v23
	s_branch .LBB5_11
.LBB5_14:                               ;   in Loop: Header=BB5_3 Depth=1
	v_mov_b32_e32 v20, 0
.LBB5_15:                               ;   in Loop: Header=BB5_3 Depth=1
	s_and_b64 vcc, exec, s[50:51]
	s_cbranch_vccz .LBB5_2
; %bb.16:                               ;   in Loop: Header=BB5_3 Depth=1
	v_lshlrev_b64 v[3:4], 2, v[2:3]
	v_mov_b32_e32 v5, s41
	v_add_co_u32_e32 v3, vcc, s40, v3
	v_addc_co_u32_e32 v4, vcc, v5, v4, vcc
	global_load_dword v3, v[3:4], off
	s_waitcnt vmcnt(0)
	v_add_f32_e32 v20, v20, v3
	s_branch .LBB5_2
.LBB5_17:
	s_endpgm
	.section	.rodata,"a",@progbits
	.p2align	6, 0x0
	.amdhsa_kernel _ZN2at6native12_GLOBAL__N_128conv_depthwise3d_cuda_kernelIffLin1ELin1ELin1ELin1ELin1ELin1EEEvN5torch10headeronly6detail27GenericPackedTensorAccessorINS5_14TensorAccessorIN3c108ArrayRefIlEEKT_Lm4ENS4_16DefaultPtrTraitsEiEENS_6detail16IndexBoundsCheckILm5EiEESC_Lm5ESD_iEENS6_INS7_ISA_SB_Lm4ESD_iEESH_SB_Lm5ESD_iEESI_PSC_iiiiiiiii
		.amdhsa_group_segment_fixed_size 0
		.amdhsa_private_segment_fixed_size 0
		.amdhsa_kernarg_size 448
		.amdhsa_user_sgpr_count 6
		.amdhsa_user_sgpr_private_segment_buffer 1
		.amdhsa_user_sgpr_dispatch_ptr 0
		.amdhsa_user_sgpr_queue_ptr 0
		.amdhsa_user_sgpr_kernarg_segment_ptr 1
		.amdhsa_user_sgpr_dispatch_id 0
		.amdhsa_user_sgpr_flat_scratch_init 0
		.amdhsa_user_sgpr_private_segment_size 0
		.amdhsa_uses_dynamic_stack 0
		.amdhsa_system_sgpr_private_segment_wavefront_offset 0
		.amdhsa_system_sgpr_workgroup_id_x 1
		.amdhsa_system_sgpr_workgroup_id_y 0
		.amdhsa_system_sgpr_workgroup_id_z 0
		.amdhsa_system_sgpr_workgroup_info 0
		.amdhsa_system_vgpr_workitem_id 0
		.amdhsa_next_free_vgpr 24
		.amdhsa_next_free_sgpr 82
		.amdhsa_reserve_vcc 1
		.amdhsa_reserve_flat_scratch 0
		.amdhsa_float_round_mode_32 0
		.amdhsa_float_round_mode_16_64 0
		.amdhsa_float_denorm_mode_32 3
		.amdhsa_float_denorm_mode_16_64 3
		.amdhsa_dx10_clamp 1
		.amdhsa_ieee_mode 1
		.amdhsa_fp16_overflow 0
		.amdhsa_exception_fp_ieee_invalid_op 0
		.amdhsa_exception_fp_denorm_src 0
		.amdhsa_exception_fp_ieee_div_zero 0
		.amdhsa_exception_fp_ieee_overflow 0
		.amdhsa_exception_fp_ieee_underflow 0
		.amdhsa_exception_fp_ieee_inexact 0
		.amdhsa_exception_int_div_zero 0
	.end_amdhsa_kernel
	.section	.text._ZN2at6native12_GLOBAL__N_128conv_depthwise3d_cuda_kernelIffLin1ELin1ELin1ELin1ELin1ELin1EEEvN5torch10headeronly6detail27GenericPackedTensorAccessorINS5_14TensorAccessorIN3c108ArrayRefIlEEKT_Lm4ENS4_16DefaultPtrTraitsEiEENS_6detail16IndexBoundsCheckILm5EiEESC_Lm5ESD_iEENS6_INS7_ISA_SB_Lm4ESD_iEESH_SB_Lm5ESD_iEESI_PSC_iiiiiiiii,"axG",@progbits,_ZN2at6native12_GLOBAL__N_128conv_depthwise3d_cuda_kernelIffLin1ELin1ELin1ELin1ELin1ELin1EEEvN5torch10headeronly6detail27GenericPackedTensorAccessorINS5_14TensorAccessorIN3c108ArrayRefIlEEKT_Lm4ENS4_16DefaultPtrTraitsEiEENS_6detail16IndexBoundsCheckILm5EiEESC_Lm5ESD_iEENS6_INS7_ISA_SB_Lm4ESD_iEESH_SB_Lm5ESD_iEESI_PSC_iiiiiiiii,comdat
.Lfunc_end5:
	.size	_ZN2at6native12_GLOBAL__N_128conv_depthwise3d_cuda_kernelIffLin1ELin1ELin1ELin1ELin1ELin1EEEvN5torch10headeronly6detail27GenericPackedTensorAccessorINS5_14TensorAccessorIN3c108ArrayRefIlEEKT_Lm4ENS4_16DefaultPtrTraitsEiEENS_6detail16IndexBoundsCheckILm5EiEESC_Lm5ESD_iEENS6_INS7_ISA_SB_Lm4ESD_iEESH_SB_Lm5ESD_iEESI_PSC_iiiiiiiii, .Lfunc_end5-_ZN2at6native12_GLOBAL__N_128conv_depthwise3d_cuda_kernelIffLin1ELin1ELin1ELin1ELin1ELin1EEEvN5torch10headeronly6detail27GenericPackedTensorAccessorINS5_14TensorAccessorIN3c108ArrayRefIlEEKT_Lm4ENS4_16DefaultPtrTraitsEiEENS_6detail16IndexBoundsCheckILm5EiEESC_Lm5ESD_iEENS6_INS7_ISA_SB_Lm4ESD_iEESH_SB_Lm5ESD_iEESI_PSC_iiiiiiiii
                                        ; -- End function
	.set _ZN2at6native12_GLOBAL__N_128conv_depthwise3d_cuda_kernelIffLin1ELin1ELin1ELin1ELin1ELin1EEEvN5torch10headeronly6detail27GenericPackedTensorAccessorINS5_14TensorAccessorIN3c108ArrayRefIlEEKT_Lm4ENS4_16DefaultPtrTraitsEiEENS_6detail16IndexBoundsCheckILm5EiEESC_Lm5ESD_iEENS6_INS7_ISA_SB_Lm4ESD_iEESH_SB_Lm5ESD_iEESI_PSC_iiiiiiiii.num_vgpr, 24
	.set _ZN2at6native12_GLOBAL__N_128conv_depthwise3d_cuda_kernelIffLin1ELin1ELin1ELin1ELin1ELin1EEEvN5torch10headeronly6detail27GenericPackedTensorAccessorINS5_14TensorAccessorIN3c108ArrayRefIlEEKT_Lm4ENS4_16DefaultPtrTraitsEiEENS_6detail16IndexBoundsCheckILm5EiEESC_Lm5ESD_iEENS6_INS7_ISA_SB_Lm4ESD_iEESH_SB_Lm5ESD_iEESI_PSC_iiiiiiiii.num_agpr, 0
	.set _ZN2at6native12_GLOBAL__N_128conv_depthwise3d_cuda_kernelIffLin1ELin1ELin1ELin1ELin1ELin1EEEvN5torch10headeronly6detail27GenericPackedTensorAccessorINS5_14TensorAccessorIN3c108ArrayRefIlEEKT_Lm4ENS4_16DefaultPtrTraitsEiEENS_6detail16IndexBoundsCheckILm5EiEESC_Lm5ESD_iEENS6_INS7_ISA_SB_Lm4ESD_iEESH_SB_Lm5ESD_iEESI_PSC_iiiiiiiii.numbered_sgpr, 82
	.set _ZN2at6native12_GLOBAL__N_128conv_depthwise3d_cuda_kernelIffLin1ELin1ELin1ELin1ELin1ELin1EEEvN5torch10headeronly6detail27GenericPackedTensorAccessorINS5_14TensorAccessorIN3c108ArrayRefIlEEKT_Lm4ENS4_16DefaultPtrTraitsEiEENS_6detail16IndexBoundsCheckILm5EiEESC_Lm5ESD_iEENS6_INS7_ISA_SB_Lm4ESD_iEESH_SB_Lm5ESD_iEESI_PSC_iiiiiiiii.num_named_barrier, 0
	.set _ZN2at6native12_GLOBAL__N_128conv_depthwise3d_cuda_kernelIffLin1ELin1ELin1ELin1ELin1ELin1EEEvN5torch10headeronly6detail27GenericPackedTensorAccessorINS5_14TensorAccessorIN3c108ArrayRefIlEEKT_Lm4ENS4_16DefaultPtrTraitsEiEENS_6detail16IndexBoundsCheckILm5EiEESC_Lm5ESD_iEENS6_INS7_ISA_SB_Lm4ESD_iEESH_SB_Lm5ESD_iEESI_PSC_iiiiiiiii.private_seg_size, 0
	.set _ZN2at6native12_GLOBAL__N_128conv_depthwise3d_cuda_kernelIffLin1ELin1ELin1ELin1ELin1ELin1EEEvN5torch10headeronly6detail27GenericPackedTensorAccessorINS5_14TensorAccessorIN3c108ArrayRefIlEEKT_Lm4ENS4_16DefaultPtrTraitsEiEENS_6detail16IndexBoundsCheckILm5EiEESC_Lm5ESD_iEENS6_INS7_ISA_SB_Lm4ESD_iEESH_SB_Lm5ESD_iEESI_PSC_iiiiiiiii.uses_vcc, 1
	.set _ZN2at6native12_GLOBAL__N_128conv_depthwise3d_cuda_kernelIffLin1ELin1ELin1ELin1ELin1ELin1EEEvN5torch10headeronly6detail27GenericPackedTensorAccessorINS5_14TensorAccessorIN3c108ArrayRefIlEEKT_Lm4ENS4_16DefaultPtrTraitsEiEENS_6detail16IndexBoundsCheckILm5EiEESC_Lm5ESD_iEENS6_INS7_ISA_SB_Lm4ESD_iEESH_SB_Lm5ESD_iEESI_PSC_iiiiiiiii.uses_flat_scratch, 0
	.set _ZN2at6native12_GLOBAL__N_128conv_depthwise3d_cuda_kernelIffLin1ELin1ELin1ELin1ELin1ELin1EEEvN5torch10headeronly6detail27GenericPackedTensorAccessorINS5_14TensorAccessorIN3c108ArrayRefIlEEKT_Lm4ENS4_16DefaultPtrTraitsEiEENS_6detail16IndexBoundsCheckILm5EiEESC_Lm5ESD_iEENS6_INS7_ISA_SB_Lm4ESD_iEESH_SB_Lm5ESD_iEESI_PSC_iiiiiiiii.has_dyn_sized_stack, 0
	.set _ZN2at6native12_GLOBAL__N_128conv_depthwise3d_cuda_kernelIffLin1ELin1ELin1ELin1ELin1ELin1EEEvN5torch10headeronly6detail27GenericPackedTensorAccessorINS5_14TensorAccessorIN3c108ArrayRefIlEEKT_Lm4ENS4_16DefaultPtrTraitsEiEENS_6detail16IndexBoundsCheckILm5EiEESC_Lm5ESD_iEENS6_INS7_ISA_SB_Lm4ESD_iEESH_SB_Lm5ESD_iEESI_PSC_iiiiiiiii.has_recursion, 0
	.set _ZN2at6native12_GLOBAL__N_128conv_depthwise3d_cuda_kernelIffLin1ELin1ELin1ELin1ELin1ELin1EEEvN5torch10headeronly6detail27GenericPackedTensorAccessorINS5_14TensorAccessorIN3c108ArrayRefIlEEKT_Lm4ENS4_16DefaultPtrTraitsEiEENS_6detail16IndexBoundsCheckILm5EiEESC_Lm5ESD_iEENS6_INS7_ISA_SB_Lm4ESD_iEESH_SB_Lm5ESD_iEESI_PSC_iiiiiiiii.has_indirect_call, 0
	.section	.AMDGPU.csdata,"",@progbits
; Kernel info:
; codeLenInByte = 1820
; TotalNumSgprs: 86
; NumVgprs: 24
; ScratchSize: 0
; MemoryBound: 0
; FloatMode: 240
; IeeeMode: 1
; LDSByteSize: 0 bytes/workgroup (compile time only)
; SGPRBlocks: 10
; VGPRBlocks: 5
; NumSGPRsForWavesPerEU: 86
; NumVGPRsForWavesPerEU: 24
; Occupancy: 9
; WaveLimiterHint : 0
; COMPUTE_PGM_RSRC2:SCRATCH_EN: 0
; COMPUTE_PGM_RSRC2:USER_SGPR: 6
; COMPUTE_PGM_RSRC2:TRAP_HANDLER: 0
; COMPUTE_PGM_RSRC2:TGID_X_EN: 1
; COMPUTE_PGM_RSRC2:TGID_Y_EN: 0
; COMPUTE_PGM_RSRC2:TGID_Z_EN: 0
; COMPUTE_PGM_RSRC2:TIDIG_COMP_CNT: 0
	.section	.text._ZN2at6native12_GLOBAL__N_128conv_depthwise3d_cuda_kernelIN3c104HalfEfLi3ELi3ELi3ELi1ELi1ELi1EEEvN5torch10headeronly6detail27GenericPackedTensorAccessorINS7_14TensorAccessorINS3_8ArrayRefIlEEKT_Lm4ENS6_16DefaultPtrTraitsEiEENS_6detail16IndexBoundsCheckILm5EiEESD_Lm5ESE_iEENS8_INS9_ISB_SC_Lm4ESE_iEESI_SC_Lm5ESE_iEESJ_PSD_iiiiiiiii,"axG",@progbits,_ZN2at6native12_GLOBAL__N_128conv_depthwise3d_cuda_kernelIN3c104HalfEfLi3ELi3ELi3ELi1ELi1ELi1EEEvN5torch10headeronly6detail27GenericPackedTensorAccessorINS7_14TensorAccessorINS3_8ArrayRefIlEEKT_Lm4ENS6_16DefaultPtrTraitsEiEENS_6detail16IndexBoundsCheckILm5EiEESD_Lm5ESE_iEENS8_INS9_ISB_SC_Lm4ESE_iEESI_SC_Lm5ESE_iEESJ_PSD_iiiiiiiii,comdat
	.globl	_ZN2at6native12_GLOBAL__N_128conv_depthwise3d_cuda_kernelIN3c104HalfEfLi3ELi3ELi3ELi1ELi1ELi1EEEvN5torch10headeronly6detail27GenericPackedTensorAccessorINS7_14TensorAccessorINS3_8ArrayRefIlEEKT_Lm4ENS6_16DefaultPtrTraitsEiEENS_6detail16IndexBoundsCheckILm5EiEESD_Lm5ESE_iEENS8_INS9_ISB_SC_Lm4ESE_iEESI_SC_Lm5ESE_iEESJ_PSD_iiiiiiiii ; -- Begin function _ZN2at6native12_GLOBAL__N_128conv_depthwise3d_cuda_kernelIN3c104HalfEfLi3ELi3ELi3ELi1ELi1ELi1EEEvN5torch10headeronly6detail27GenericPackedTensorAccessorINS7_14TensorAccessorINS3_8ArrayRefIlEEKT_Lm4ENS6_16DefaultPtrTraitsEiEENS_6detail16IndexBoundsCheckILm5EiEESD_Lm5ESE_iEENS8_INS9_ISB_SC_Lm4ESE_iEESI_SC_Lm5ESE_iEESJ_PSD_iiiiiiiii
	.p2align	8
	.type	_ZN2at6native12_GLOBAL__N_128conv_depthwise3d_cuda_kernelIN3c104HalfEfLi3ELi3ELi3ELi1ELi1ELi1EEEvN5torch10headeronly6detail27GenericPackedTensorAccessorINS7_14TensorAccessorINS3_8ArrayRefIlEEKT_Lm4ENS6_16DefaultPtrTraitsEiEENS_6detail16IndexBoundsCheckILm5EiEESD_Lm5ESE_iEENS8_INS9_ISB_SC_Lm4ESE_iEESI_SC_Lm5ESE_iEESJ_PSD_iiiiiiiii,@function
_ZN2at6native12_GLOBAL__N_128conv_depthwise3d_cuda_kernelIN3c104HalfEfLi3ELi3ELi3ELi1ELi1ELi1EEEvN5torch10headeronly6detail27GenericPackedTensorAccessorINS7_14TensorAccessorINS3_8ArrayRefIlEEKT_Lm4ENS6_16DefaultPtrTraitsEiEENS_6detail16IndexBoundsCheckILm5EiEESD_Lm5ESE_iEENS8_INS9_ISB_SC_Lm4ESE_iEESI_SC_Lm5ESE_iEESJ_PSD_iiiiiiiii: ; @_ZN2at6native12_GLOBAL__N_128conv_depthwise3d_cuda_kernelIN3c104HalfEfLi3ELi3ELi3ELi1ELi1ELi1EEEvN5torch10headeronly6detail27GenericPackedTensorAccessorINS7_14TensorAccessorINS3_8ArrayRefIlEEKT_Lm4ENS6_16DefaultPtrTraitsEiEENS_6detail16IndexBoundsCheckILm5EiEESD_Lm5ESE_iEENS8_INS9_ISB_SC_Lm4ESE_iEESI_SC_Lm5ESE_iEESJ_PSD_iiiiiiiii
; %bb.0:
	s_load_dwordx4 s[28:31], s[4:5], 0xc
	s_load_dwordx4 s[36:39], s[4:5], 0x38
	s_load_dwordx2 s[34:35], s[4:5], 0x48
	s_load_dword s2, s[4:5], 0xcc
	v_mov_b32_e32 v7, 0
	s_waitcnt lgkmcnt(0)
	s_abs_i32 s3, s28
	v_cvt_f32_u32_e32 v1, s3
	s_add_u32 s0, s4, 0xc0
	s_addc_u32 s1, s5, 0
	s_and_b32 s2, s2, 0xffff
	v_rcp_iflag_f32_e32 v1, v1
	s_mul_i32 s52, s35, s36
	s_mul_hi_u32 s33, s2, s6
	s_mul_i32 s36, s2, s6
	v_mul_f32_e32 v1, 0x4f7ffffe, v1
	v_cvt_u32_f32_e32 v1, v1
	v_mov_b32_e32 v2, s33
	s_ashr_i32 s53, s52, 31
	v_readfirstlane_b32 s6, v1
	v_add_co_u32_e32 v1, vcc, s36, v0
	v_addc_co_u32_e32 v2, vcc, 0, v2, vcc
	v_cmp_gt_i64_e32 vcc, s[52:53], v[1:2]
	s_and_saveexec_b64 s[8:9], vcc
	s_cbranch_execz .LBB6_59
; %bb.1:
	s_sub_i32 s8, 0, s3
	s_mul_i32 s8, s8, s6
	s_mul_hi_u32 s8, s6, s8
	s_ashr_i32 s7, s28, 31
	s_abs_i32 s28, s37
	s_add_i32 s6, s6, s8
	s_mul_hi_u32 s6, s28, s6
	s_mul_i32 s8, s6, s3
	s_ashr_i32 s74, s37, 31
	s_sub_i32 s8, s28, s8
	s_xor_b32 s7, s74, s7
	s_add_i32 s9, s6, 1
	s_sub_i32 s10, s8, s3
	s_cmp_ge_u32 s8, s3
	s_cselect_b32 s6, s9, s6
	s_cselect_b32 s8, s10, s8
	s_add_i32 s9, s6, 1
	s_cmp_ge_u32 s8, s3
	s_cselect_b32 s3, s9, s6
	s_add_i32 s6, s30, -3
	s_xor_b32 s3, s3, s7
	s_mul_i32 s6, s31, s6
	s_load_dwordx4 s[40:43], s[4:5], 0x98
	s_load_dwordx2 s[54:55], s[4:5], 0xa8
	s_sub_i32 s3, s3, s7
	s_load_dword s8, s[0:1], 0x0
	s_load_dwordx2 s[56:57], s[4:5], 0x90
	s_load_dword s75, s[4:5], 0x7c
	s_load_dwordx2 s[58:59], s[4:5], 0x0
	s_load_dwordx4 s[44:47], s[4:5], 0x1c
	s_load_dword s76, s[4:5], 0x2c
	s_load_dwordx2 s[60:61], s[4:5], 0x30
	s_ashr_i32 s1, s31, 31
	s_ashr_i32 s7, s6, 31
	s_waitcnt lgkmcnt(0)
	s_cmp_lg_u64 s[56:57], 0
	s_cselect_b64 s[62:63], -1, 0
	s_abs_i32 s77, s34
	v_cvt_f32_u32_e32 v1, s77
	s_abs_i32 s78, s39
	v_cvt_f32_u32_e32 v2, s78
	s_mul_i32 s79, s8, s2
	v_rcp_iflag_f32_e32 v1, v1
	s_sub_i32 s2, 0, s77
	v_rcp_iflag_f32_e32 v2, v2
	s_abs_i32 s80, s38
	v_mul_f32_e32 v1, 0x4f7ffffe, v1
	v_cvt_u32_f32_e32 v1, v1
	v_mul_f32_e32 v2, 0x4f7ffffe, v2
	v_cvt_u32_f32_e32 v2, v2
	v_cvt_f32_u32_e32 v5, s80
	v_mul_lo_u32 v3, s2, v1
	s_sub_i32 s2, 0, s78
	v_mul_lo_u32 v4, s2, v2
	s_abs_i32 s83, s3
	v_mul_hi_u32 v3, v1, v3
	v_rcp_iflag_f32_e32 v5, v5
	v_mul_hi_u32 v4, v2, v4
	s_sub_i32 s2, 0, s80
	v_add_u32_e32 v8, v1, v3
	v_cvt_f32_u32_e32 v3, s83
	v_add_u32_e32 v9, v2, v4
	v_cvt_f32_u32_e32 v2, s28
	v_mul_f32_e32 v1, 0x4f7ffffe, v5
	v_rcp_iflag_f32_e32 v3, v3
	v_cvt_u32_f32_e32 v1, v1
	v_rcp_iflag_f32_e32 v2, v2
	s_load_dwordx2 s[66:67], s[4:5], 0x60
	s_load_dwordx4 s[48:51], s[4:5], 0x50
	v_mul_f32_e32 v3, 0x4f7ffffe, v3
	v_cvt_u32_f32_e32 v3, v3
	v_mul_f32_e32 v2, 0x4f7ffffe, v2
	v_cvt_u32_f32_e32 v2, v2
	v_mul_lo_u32 v4, s2, v1
	s_sub_i32 s2, 0, s28
	s_mov_b32 s0, s31
	v_mul_lo_u32 v5, s2, v2
	s_sub_i32 s2, 0, s83
	v_mul_lo_u32 v6, s2, v3
	v_mul_hi_u32 v4, v1, v4
	v_mul_hi_u32 v5, v2, v5
	s_mov_b64 s[64:65], 0
	v_mul_hi_u32 v6, v3, v6
	s_ashr_i32 s81, s34, 31
	s_ashr_i32 s82, s39, 31
	;; [unrolled: 1-line block ×3, first 2 shown]
	v_add_u32_e32 v10, v1, v4
	v_add_u32_e32 v11, v2, v5
	s_ashr_i32 s85, s3, 31
	v_add_u32_e32 v12, v3, v6
	s_waitcnt lgkmcnt(0)
	v_mov_b32_e32 v13, s67
	v_mov_b32_e32 v14, s59
	s_lshl_b64 s[68:69], s[0:1], 1
	s_lshl_b64 s[70:71], s[6:7], 1
	s_branch .LBB6_3
.LBB6_2:                                ;   in Loop: Header=BB6_3 Depth=1
	v_mul_lo_u32 v2, v18, s35
	v_mul_lo_u32 v1, s48, v1
	v_mov_b32_e32 v4, s61
	v_cvt_f16_f32_e32 v5, v19
	v_ashrrev_i32_e32 v3, 31, v2
	v_lshlrev_b64 v[2:3], 1, v[2:3]
	v_add_co_u32_e32 v6, vcc, s60, v2
	v_addc_co_u32_e32 v4, vcc, v4, v3, vcc
	v_ashrrev_i32_e32 v2, 31, v1
	v_mul_lo_u32 v3, s49, v17
	v_lshlrev_b64 v[1:2], 1, v[1:2]
	v_add_co_u32_e32 v6, vcc, v6, v1
	v_addc_co_u32_e32 v17, vcc, v4, v2, vcc
	v_ashrrev_i32_e32 v4, 31, v3
	v_lshlrev_b64 v[1:2], 1, v[3:4]
	v_mul_lo_u32 v3, s50, v16
	v_add_co_u32_e32 v6, vcc, v6, v1
	v_addc_co_u32_e32 v16, vcc, v17, v2, vcc
	v_ashrrev_i32_e32 v4, 31, v3
	v_lshlrev_b64 v[1:2], 1, v[3:4]
	v_mul_lo_u32 v3, s51, v15
	v_add_co_u32_e32 v6, vcc, v6, v1
	v_addc_co_u32_e32 v15, vcc, v16, v2, vcc
	v_add_co_u32_e32 v0, vcc, s79, v0
	v_ashrrev_i32_e32 v4, 31, v3
	v_addc_co_u32_e32 v7, vcc, 0, v7, vcc
	v_lshlrev_b64 v[1:2], 1, v[3:4]
	v_mov_b32_e32 v4, s33
	v_add_co_u32_e32 v3, vcc, s36, v0
	v_addc_co_u32_e32 v4, vcc, v4, v7, vcc
	v_cmp_le_i64_e32 vcc, s[52:53], v[3:4]
	v_add_co_u32_e64 v1, s[0:1], v6, v1
	v_addc_co_u32_e64 v2, s[0:1], v15, v2, s[0:1]
	s_or_b64 s[64:65], vcc, s[64:65]
	global_store_short v[1:2], v5, off
	s_andn2_b64 exec, exec, s[64:65]
	s_cbranch_execz .LBB6_59
.LBB6_3:                                ; =>This Inner Loop Header: Depth=1
	v_add_u32_e32 v2, s36, v0
	v_sub_u32_e32 v1, 0, v2
	v_max_i32_e32 v1, v2, v1
	v_mul_hi_u32 v3, v1, v8
	v_ashrrev_i32_e32 v5, 31, v2
	v_xor_b32_e32 v5, s81, v5
	v_mul_lo_u32 v4, v3, s77
	v_add_u32_e32 v6, 1, v3
	v_sub_u32_e32 v1, v1, v4
	v_cmp_le_u32_e32 vcc, s77, v1
	v_subrev_u32_e32 v4, s77, v1
	v_cndmask_b32_e32 v3, v3, v6, vcc
	v_cndmask_b32_e32 v1, v1, v4, vcc
	v_add_u32_e32 v4, 1, v3
	v_cmp_le_u32_e32 vcc, s77, v1
	v_cndmask_b32_e32 v1, v3, v4, vcc
	v_xor_b32_e32 v1, v1, v5
	v_sub_u32_e32 v3, v1, v5
	v_sub_u32_e32 v1, 0, v3
	v_max_i32_e32 v1, v3, v1
	v_mul_hi_u32 v4, v1, v9
	v_ashrrev_i32_e32 v6, 31, v3
	v_xor_b32_e32 v6, s82, v6
	v_mul_lo_u32 v5, v4, s78
	v_add_u32_e32 v15, 1, v4
	v_sub_u32_e32 v1, v1, v5
	v_cmp_le_u32_e32 vcc, s78, v1
	v_subrev_u32_e32 v5, s78, v1
	v_cndmask_b32_e32 v4, v4, v15, vcc
	v_cndmask_b32_e32 v1, v1, v5, vcc
	v_add_u32_e32 v5, 1, v4
	v_cmp_le_u32_e32 vcc, s78, v1
	v_cndmask_b32_e32 v1, v4, v5, vcc
	v_xor_b32_e32 v1, v1, v6
	v_sub_u32_e32 v4, v1, v6
	;; [unrolled: 17-line block ×4, first 2 shown]
	v_mul_lo_u32 v1, v18, s37
	v_mul_lo_u32 v16, v4, s39
	;; [unrolled: 1-line block ×3, first 2 shown]
	v_sub_u32_e32 v1, v5, v1
	v_sub_u32_e32 v15, 0, v1
	v_max_i32_e32 v19, v1, v15
	v_mul_hi_u32 v20, v19, v12
	v_sub_u32_e32 v16, v3, v16
	v_mul_lo_u32 v5, v5, s38
	v_sub_u32_e32 v15, v2, v6
	v_mul_lo_u32 v3, v20, s83
	v_ashrrev_i32_e32 v2, 31, v1
	v_sub_u32_e32 v17, v4, v5
	v_add_u32_e32 v5, 1, v20
	v_sub_u32_e32 v3, v19, v3
	v_cmp_le_u32_e32 vcc, s83, v3
	v_subrev_u32_e32 v6, s83, v3
	v_cndmask_b32_e32 v5, v20, v5, vcc
	v_cndmask_b32_e32 v3, v3, v6, vcc
	v_add_u32_e32 v6, 1, v5
	v_cmp_le_u32_e32 vcc, s83, v3
	v_xor_b32_e32 v4, s85, v2
	v_cndmask_b32_e32 v5, v5, v6, vcc
	v_mul_lo_u32 v3, s44, v18
	v_xor_b32_e32 v5, v5, v4
	v_sub_u32_e32 v5, v5, v4
	v_mul_lo_u32 v6, v17, s40
	v_mul_lo_u32 v5, s45, v5
	v_ashrrev_i32_e32 v4, 31, v3
	v_lshlrev_b64 v[3:4], 1, v[3:4]
	v_subrev_u32_e32 v20, s43, v6
	v_add_co_u32_e32 v19, vcc, s58, v3
	v_ashrrev_i32_e32 v6, 31, v5
	v_addc_co_u32_e32 v21, vcc, v14, v4, vcc
	v_mul_lo_u32 v22, v16, s41
	v_lshlrev_b64 v[3:4], 1, v[5:6]
	v_mul_lo_u32 v5, s46, v20
	v_add_co_u32_e32 v19, vcc, v19, v3
	v_addc_co_u32_e32 v23, vcc, v21, v4, vcc
	v_subrev_u32_e32 v21, s54, v22
	v_ashrrev_i32_e32 v6, 31, v5
	v_lshlrev_b64 v[3:4], 1, v[5:6]
	v_mul_lo_u32 v5, s47, v21
	v_mul_lo_u32 v22, v15, s42
	v_add_co_u32_e32 v19, vcc, v19, v3
	v_ashrrev_i32_e32 v6, 31, v5
	v_subrev_u32_e32 v22, s55, v22
	v_addc_co_u32_e32 v23, vcc, v23, v4, vcc
	v_lshlrev_b64 v[3:4], 1, v[5:6]
	v_mul_lo_u32 v5, s76, v22
	v_add_co_u32_e32 v19, vcc, v19, v3
	v_addc_co_u32_e32 v24, vcc, v23, v4, vcc
	v_ashrrev_i32_e32 v6, 31, v5
	v_mul_lo_u32 v23, s75, v1
	v_lshlrev_b64 v[3:4], 1, v[5:6]
	v_cmp_gt_i32_e64 s[22:23], s29, v20
	v_add_co_u32_e32 v5, vcc, v19, v3
	v_addc_co_u32_e32 v6, vcc, v24, v4, vcc
	v_ashrrev_i32_e32 v24, 31, v23
	v_or_b32_e32 v19, v20, v21
	v_lshlrev_b64 v[3:4], 1, v[23:24]
	v_cmp_lt_i32_e64 s[8:9], -1, v19
	v_or_b32_e32 v19, v19, v22
	v_cmp_lt_i32_e64 s[0:1], -1, v19
	v_add_co_u32_e32 v3, vcc, s66, v3
	v_cmp_gt_i32_e64 s[10:11], s30, v21
	s_and_b64 s[0:1], s[0:1], s[22:23]
	v_addc_co_u32_e32 v4, vcc, v13, v4, vcc
	s_and_b64 s[2:3], s[0:1], s[10:11]
	v_cmp_gt_i32_e64 s[0:1], s31, v22
	v_cmp_lt_i32_e64 s[14:15], -1, v20
	v_cmp_lt_i32_e64 s[16:17], -1, v21
	v_cmp_lt_i32_e32 vcc, -1, v22
	s_and_b64 s[4:5], s[2:3], s[0:1]
	v_mov_b32_e32 v19, 0
	s_and_saveexec_b64 s[2:3], s[4:5]
	s_cbranch_execz .LBB6_5
; %bb.4:                                ;   in Loop: Header=BB6_3 Depth=1
	global_load_ushort v19, v[3:4], off
	global_load_ushort v23, v[5:6], off
	s_waitcnt vmcnt(0)
	v_fma_mix_f32 v19, v19, v23, 0 op_sel_hi:[1,1,0]
.LBB6_5:                                ;   in Loop: Header=BB6_3 Depth=1
	s_or_b64 exec, exec, s[2:3]
	v_cmp_lt_i32_e64 s[2:3], -2, v22
	s_and_b64 s[4:5], s[8:9], s[2:3]
	v_add_u32_e32 v23, 1, v22
	s_and_b64 s[4:5], s[4:5], s[22:23]
	s_and_b64 s[6:7], s[4:5], s[10:11]
	v_cmp_gt_i32_e64 s[4:5], s31, v23
	s_and_b64 s[12:13], s[6:7], s[4:5]
	s_and_saveexec_b64 s[6:7], s[12:13]
	s_cbranch_execz .LBB6_7
; %bb.6:                                ;   in Loop: Header=BB6_3 Depth=1
	global_load_ushort v23, v[3:4], off offset:2
	global_load_ushort v24, v[5:6], off offset:2
	s_waitcnt vmcnt(0)
	v_fma_mix_f32 v19, v23, v24, v19 op_sel_hi:[1,1,0]
.LBB6_7:                                ;   in Loop: Header=BB6_3 Depth=1
	s_or_b64 exec, exec, s[6:7]
	v_cmp_lt_i32_e64 s[6:7], -3, v22
	s_and_b64 s[8:9], s[8:9], s[6:7]
	v_add_u32_e32 v23, 2, v22
	s_and_b64 s[8:9], s[8:9], s[22:23]
	s_and_b64 s[12:13], s[8:9], s[10:11]
	v_cmp_gt_i32_e64 s[8:9], s31, v23
	s_and_b64 s[18:19], s[12:13], s[8:9]
	s_and_saveexec_b64 s[12:13], s[18:19]
	s_cbranch_execz .LBB6_9
; %bb.8:                                ;   in Loop: Header=BB6_3 Depth=1
	global_load_ushort v22, v[3:4], off offset:4
	global_load_ushort v23, v[5:6], off offset:4
	s_waitcnt vmcnt(0)
	v_fma_mix_f32 v19, v22, v23, v19 op_sel_hi:[1,1,0]
.LBB6_9:                                ;   in Loop: Header=BB6_3 Depth=1
	s_or_b64 exec, exec, s[12:13]
	v_cmp_lt_i32_e64 s[18:19], -2, v21
	v_mov_b32_e32 v22, s69
	v_add_co_u32_e64 v5, s[12:13], s68, v5
	s_and_b64 s[20:21], s[14:15], s[18:19]
	v_addc_co_u32_e64 v6, s[12:13], v6, v22, s[12:13]
	v_add_u32_e32 v22, 1, v21
	s_and_b64 s[24:25], s[20:21], vcc
	v_cmp_gt_i32_e64 s[12:13], s30, v22
	s_and_b64 s[24:25], s[24:25], s[22:23]
	s_and_b64 s[24:25], s[24:25], s[12:13]
	;; [unrolled: 1-line block ×3, first 2 shown]
	s_and_saveexec_b64 s[24:25], s[26:27]
	s_cbranch_execz .LBB6_11
; %bb.10:                               ;   in Loop: Header=BB6_3 Depth=1
	global_load_ushort v22, v[3:4], off offset:6
	global_load_ushort v23, v[5:6], off
	s_waitcnt vmcnt(0)
	v_fma_mix_f32 v19, v22, v23, v19 op_sel_hi:[1,1,0]
.LBB6_11:                               ;   in Loop: Header=BB6_3 Depth=1
	s_or_b64 exec, exec, s[24:25]
	s_and_b64 s[24:25], s[20:21], s[2:3]
	s_and_b64 s[24:25], s[24:25], s[22:23]
	s_and_b64 s[24:25], s[24:25], s[12:13]
	s_and_b64 s[26:27], s[24:25], s[4:5]
	s_and_saveexec_b64 s[24:25], s[26:27]
	s_cbranch_execz .LBB6_13
; %bb.12:                               ;   in Loop: Header=BB6_3 Depth=1
	global_load_ushort v22, v[3:4], off offset:8
	global_load_ushort v23, v[5:6], off offset:2
	s_waitcnt vmcnt(0)
	v_fma_mix_f32 v19, v22, v23, v19 op_sel_hi:[1,1,0]
.LBB6_13:                               ;   in Loop: Header=BB6_3 Depth=1
	s_or_b64 exec, exec, s[24:25]
	s_and_b64 s[20:21], s[20:21], s[6:7]
	s_and_b64 s[20:21], s[20:21], s[22:23]
	;; [unrolled: 1-line block ×4, first 2 shown]
	s_and_saveexec_b64 s[20:21], s[24:25]
	s_cbranch_execz .LBB6_15
; %bb.14:                               ;   in Loop: Header=BB6_3 Depth=1
	global_load_ushort v22, v[3:4], off offset:10
	global_load_ushort v23, v[5:6], off offset:4
	s_waitcnt vmcnt(0)
	v_fma_mix_f32 v19, v22, v23, v19 op_sel_hi:[1,1,0]
.LBB6_15:                               ;   in Loop: Header=BB6_3 Depth=1
	s_or_b64 exec, exec, s[20:21]
	v_mov_b32_e32 v22, s69
	v_add_co_u32_e64 v5, s[20:21], s68, v5
	v_addc_co_u32_e64 v6, s[20:21], v6, v22, s[20:21]
	v_cmp_lt_i32_e64 s[20:21], -3, v21
	s_and_b64 s[24:25], s[14:15], s[20:21]
	v_add_u32_e32 v22, 2, v21
	s_and_b64 s[26:27], s[24:25], vcc
	v_cmp_gt_i32_e64 s[14:15], s30, v22
	s_and_b64 s[26:27], s[26:27], s[22:23]
	s_and_b64 s[26:27], s[26:27], s[14:15]
	;; [unrolled: 1-line block ×3, first 2 shown]
	s_and_saveexec_b64 s[26:27], s[72:73]
	s_cbranch_execz .LBB6_17
; %bb.16:                               ;   in Loop: Header=BB6_3 Depth=1
	global_load_ushort v21, v[3:4], off offset:12
	global_load_ushort v22, v[5:6], off
	s_waitcnt vmcnt(0)
	v_fma_mix_f32 v19, v21, v22, v19 op_sel_hi:[1,1,0]
.LBB6_17:                               ;   in Loop: Header=BB6_3 Depth=1
	s_or_b64 exec, exec, s[26:27]
	s_and_b64 s[26:27], s[24:25], s[2:3]
	s_and_b64 s[26:27], s[26:27], s[22:23]
	;; [unrolled: 1-line block ×4, first 2 shown]
	s_and_saveexec_b64 s[26:27], s[72:73]
	s_cbranch_execz .LBB6_19
; %bb.18:                               ;   in Loop: Header=BB6_3 Depth=1
	global_load_ushort v21, v[3:4], off offset:14
	global_load_ushort v22, v[5:6], off offset:2
	s_waitcnt vmcnt(0)
	v_fma_mix_f32 v19, v21, v22, v19 op_sel_hi:[1,1,0]
.LBB6_19:                               ;   in Loop: Header=BB6_3 Depth=1
	s_or_b64 exec, exec, s[26:27]
	s_and_b64 s[24:25], s[24:25], s[6:7]
	s_and_b64 s[22:23], s[24:25], s[22:23]
	;; [unrolled: 1-line block ×4, first 2 shown]
	s_and_saveexec_b64 s[22:23], s[24:25]
	s_cbranch_execz .LBB6_21
; %bb.20:                               ;   in Loop: Header=BB6_3 Depth=1
	global_load_ushort v21, v[3:4], off offset:16
	global_load_ushort v22, v[5:6], off offset:4
	s_waitcnt vmcnt(0)
	v_fma_mix_f32 v19, v21, v22, v19 op_sel_hi:[1,1,0]
.LBB6_21:                               ;   in Loop: Header=BB6_3 Depth=1
	s_or_b64 exec, exec, s[22:23]
	v_mov_b32_e32 v21, s69
	v_add_co_u32_e64 v5, s[22:23], s68, v5
	v_addc_co_u32_e64 v6, s[22:23], v6, v21, s[22:23]
	v_mov_b32_e32 v21, s71
	v_add_co_u32_e64 v5, s[22:23], s70, v5
	v_cmp_lt_i32_e64 s[24:25], -2, v20
	v_addc_co_u32_e64 v6, s[22:23], v6, v21, s[22:23]
	v_add_u32_e32 v21, 1, v20
	s_and_b64 s[26:27], s[24:25], s[16:17]
	v_cmp_gt_i32_e64 s[22:23], s29, v21
	s_and_b64 s[72:73], s[26:27], vcc
	s_and_b64 s[72:73], s[72:73], s[22:23]
	s_and_b64 s[72:73], s[72:73], s[10:11]
	;; [unrolled: 1-line block ×3, first 2 shown]
	s_and_saveexec_b64 s[72:73], s[86:87]
	s_cbranch_execz .LBB6_23
; %bb.22:                               ;   in Loop: Header=BB6_3 Depth=1
	global_load_ushort v21, v[3:4], off offset:18
	global_load_ushort v22, v[5:6], off
	s_waitcnt vmcnt(0)
	v_fma_mix_f32 v19, v21, v22, v19 op_sel_hi:[1,1,0]
.LBB6_23:                               ;   in Loop: Header=BB6_3 Depth=1
	s_or_b64 exec, exec, s[72:73]
	s_and_b64 s[72:73], s[26:27], s[2:3]
	s_and_b64 s[72:73], s[72:73], s[22:23]
	;; [unrolled: 1-line block ×4, first 2 shown]
	s_and_saveexec_b64 s[72:73], s[86:87]
	s_cbranch_execz .LBB6_25
; %bb.24:                               ;   in Loop: Header=BB6_3 Depth=1
	global_load_ushort v21, v[3:4], off offset:20
	global_load_ushort v22, v[5:6], off offset:2
	s_waitcnt vmcnt(0)
	v_fma_mix_f32 v19, v21, v22, v19 op_sel_hi:[1,1,0]
.LBB6_25:                               ;   in Loop: Header=BB6_3 Depth=1
	s_or_b64 exec, exec, s[72:73]
	s_and_b64 s[26:27], s[26:27], s[6:7]
	s_and_b64 s[26:27], s[26:27], s[22:23]
	;; [unrolled: 1-line block ×4, first 2 shown]
	s_and_saveexec_b64 s[26:27], s[72:73]
	s_cbranch_execz .LBB6_27
; %bb.26:                               ;   in Loop: Header=BB6_3 Depth=1
	global_load_ushort v21, v[3:4], off offset:22
	global_load_ushort v22, v[5:6], off offset:4
	s_waitcnt vmcnt(0)
	v_fma_mix_f32 v19, v21, v22, v19 op_sel_hi:[1,1,0]
.LBB6_27:                               ;   in Loop: Header=BB6_3 Depth=1
	s_or_b64 exec, exec, s[26:27]
	v_mov_b32_e32 v21, s69
	v_add_co_u32_e64 v5, s[26:27], s68, v5
	v_addc_co_u32_e64 v6, s[26:27], v6, v21, s[26:27]
	s_and_b64 s[26:27], s[24:25], s[18:19]
	s_and_b64 s[72:73], s[26:27], vcc
	s_and_b64 s[72:73], s[72:73], s[22:23]
	s_and_b64 s[72:73], s[72:73], s[12:13]
	;; [unrolled: 1-line block ×3, first 2 shown]
	s_and_saveexec_b64 s[72:73], s[86:87]
	s_cbranch_execz .LBB6_29
; %bb.28:                               ;   in Loop: Header=BB6_3 Depth=1
	global_load_ushort v21, v[3:4], off offset:24
	global_load_ushort v22, v[5:6], off
	s_waitcnt vmcnt(0)
	v_fma_mix_f32 v19, v21, v22, v19 op_sel_hi:[1,1,0]
.LBB6_29:                               ;   in Loop: Header=BB6_3 Depth=1
	s_or_b64 exec, exec, s[72:73]
	s_and_b64 s[72:73], s[26:27], s[2:3]
	s_and_b64 s[72:73], s[72:73], s[22:23]
	;; [unrolled: 1-line block ×4, first 2 shown]
	s_and_saveexec_b64 s[72:73], s[86:87]
	s_cbranch_execz .LBB6_31
; %bb.30:                               ;   in Loop: Header=BB6_3 Depth=1
	global_load_ushort v21, v[3:4], off offset:26
	global_load_ushort v22, v[5:6], off offset:2
	s_waitcnt vmcnt(0)
	v_fma_mix_f32 v19, v21, v22, v19 op_sel_hi:[1,1,0]
.LBB6_31:                               ;   in Loop: Header=BB6_3 Depth=1
	s_or_b64 exec, exec, s[72:73]
	s_and_b64 s[26:27], s[26:27], s[6:7]
	s_and_b64 s[26:27], s[26:27], s[22:23]
	;; [unrolled: 1-line block ×4, first 2 shown]
	s_and_saveexec_b64 s[26:27], s[72:73]
	s_cbranch_execz .LBB6_33
; %bb.32:                               ;   in Loop: Header=BB6_3 Depth=1
	global_load_ushort v21, v[3:4], off offset:28
	global_load_ushort v22, v[5:6], off offset:4
	s_waitcnt vmcnt(0)
	v_fma_mix_f32 v19, v21, v22, v19 op_sel_hi:[1,1,0]
.LBB6_33:                               ;   in Loop: Header=BB6_3 Depth=1
	s_or_b64 exec, exec, s[26:27]
	v_mov_b32_e32 v21, s69
	v_add_co_u32_e64 v5, s[26:27], s68, v5
	v_addc_co_u32_e64 v6, s[26:27], v6, v21, s[26:27]
	s_and_b64 s[24:25], s[24:25], s[20:21]
	s_and_b64 s[26:27], s[24:25], vcc
	s_and_b64 s[26:27], s[26:27], s[22:23]
	s_and_b64 s[26:27], s[26:27], s[14:15]
	;; [unrolled: 1-line block ×3, first 2 shown]
	s_and_saveexec_b64 s[26:27], s[72:73]
	s_cbranch_execz .LBB6_35
; %bb.34:                               ;   in Loop: Header=BB6_3 Depth=1
	global_load_ushort v21, v[3:4], off offset:30
	global_load_ushort v22, v[5:6], off
	s_waitcnt vmcnt(0)
	v_fma_mix_f32 v19, v21, v22, v19 op_sel_hi:[1,1,0]
.LBB6_35:                               ;   in Loop: Header=BB6_3 Depth=1
	s_or_b64 exec, exec, s[26:27]
	s_and_b64 s[26:27], s[24:25], s[2:3]
	s_and_b64 s[26:27], s[26:27], s[22:23]
	;; [unrolled: 1-line block ×4, first 2 shown]
	s_and_saveexec_b64 s[26:27], s[72:73]
	s_cbranch_execz .LBB6_37
; %bb.36:                               ;   in Loop: Header=BB6_3 Depth=1
	global_load_ushort v21, v[3:4], off offset:32
	global_load_ushort v22, v[5:6], off offset:2
	s_waitcnt vmcnt(0)
	v_fma_mix_f32 v19, v21, v22, v19 op_sel_hi:[1,1,0]
.LBB6_37:                               ;   in Loop: Header=BB6_3 Depth=1
	s_or_b64 exec, exec, s[26:27]
	s_and_b64 s[24:25], s[24:25], s[6:7]
	s_and_b64 s[22:23], s[24:25], s[22:23]
	;; [unrolled: 1-line block ×4, first 2 shown]
	s_and_saveexec_b64 s[22:23], s[24:25]
	s_cbranch_execz .LBB6_39
; %bb.38:                               ;   in Loop: Header=BB6_3 Depth=1
	global_load_ushort v21, v[3:4], off offset:34
	global_load_ushort v22, v[5:6], off offset:4
	s_waitcnt vmcnt(0)
	v_fma_mix_f32 v19, v21, v22, v19 op_sel_hi:[1,1,0]
.LBB6_39:                               ;   in Loop: Header=BB6_3 Depth=1
	s_or_b64 exec, exec, s[22:23]
	v_mov_b32_e32 v21, s69
	v_add_co_u32_e64 v5, s[22:23], s68, v5
	v_addc_co_u32_e64 v6, s[22:23], v6, v21, s[22:23]
	v_mov_b32_e32 v21, s71
	v_add_co_u32_e64 v5, s[22:23], s70, v5
	v_cmp_lt_i32_e64 s[24:25], -3, v20
	v_addc_co_u32_e64 v6, s[22:23], v6, v21, s[22:23]
	v_add_u32_e32 v21, 2, v20
	s_and_b64 s[16:17], s[24:25], s[16:17]
	v_cmp_gt_i32_e64 s[22:23], s29, v21
	s_and_b64 s[26:27], s[16:17], vcc
	s_and_b64 s[26:27], s[26:27], s[22:23]
	s_and_b64 s[26:27], s[26:27], s[10:11]
	;; [unrolled: 1-line block ×3, first 2 shown]
	s_and_saveexec_b64 s[26:27], s[72:73]
	s_cbranch_execz .LBB6_41
; %bb.40:                               ;   in Loop: Header=BB6_3 Depth=1
	global_load_ushort v20, v[3:4], off offset:36
	global_load_ushort v21, v[5:6], off
	s_waitcnt vmcnt(0)
	v_fma_mix_f32 v19, v20, v21, v19 op_sel_hi:[1,1,0]
.LBB6_41:                               ;   in Loop: Header=BB6_3 Depth=1
	s_or_b64 exec, exec, s[26:27]
	s_and_b64 s[26:27], s[16:17], s[2:3]
	s_and_b64 s[26:27], s[26:27], s[22:23]
	;; [unrolled: 1-line block ×4, first 2 shown]
	s_and_saveexec_b64 s[26:27], s[72:73]
	s_cbranch_execz .LBB6_43
; %bb.42:                               ;   in Loop: Header=BB6_3 Depth=1
	global_load_ushort v20, v[3:4], off offset:38
	global_load_ushort v21, v[5:6], off offset:2
	s_waitcnt vmcnt(0)
	v_fma_mix_f32 v19, v20, v21, v19 op_sel_hi:[1,1,0]
.LBB6_43:                               ;   in Loop: Header=BB6_3 Depth=1
	s_or_b64 exec, exec, s[26:27]
	s_and_b64 s[16:17], s[16:17], s[6:7]
	s_and_b64 s[16:17], s[16:17], s[22:23]
	;; [unrolled: 1-line block ×4, first 2 shown]
	s_and_saveexec_b64 s[10:11], s[16:17]
	s_cbranch_execz .LBB6_45
; %bb.44:                               ;   in Loop: Header=BB6_3 Depth=1
	global_load_ushort v20, v[3:4], off offset:40
	global_load_ushort v21, v[5:6], off offset:4
	s_waitcnt vmcnt(0)
	v_fma_mix_f32 v19, v20, v21, v19 op_sel_hi:[1,1,0]
.LBB6_45:                               ;   in Loop: Header=BB6_3 Depth=1
	s_or_b64 exec, exec, s[10:11]
	v_mov_b32_e32 v20, s69
	v_add_co_u32_e64 v5, s[10:11], s68, v5
	v_addc_co_u32_e64 v6, s[10:11], v6, v20, s[10:11]
	s_and_b64 s[10:11], s[24:25], s[18:19]
	s_and_b64 s[16:17], s[10:11], vcc
	s_and_b64 s[16:17], s[16:17], s[22:23]
	s_and_b64 s[16:17], s[16:17], s[12:13]
	;; [unrolled: 1-line block ×3, first 2 shown]
	s_and_saveexec_b64 s[16:17], s[18:19]
	s_cbranch_execz .LBB6_47
; %bb.46:                               ;   in Loop: Header=BB6_3 Depth=1
	global_load_ushort v20, v[3:4], off offset:42
	global_load_ushort v21, v[5:6], off
	s_waitcnt vmcnt(0)
	v_fma_mix_f32 v19, v20, v21, v19 op_sel_hi:[1,1,0]
.LBB6_47:                               ;   in Loop: Header=BB6_3 Depth=1
	s_or_b64 exec, exec, s[16:17]
	s_and_b64 s[16:17], s[10:11], s[2:3]
	s_and_b64 s[16:17], s[16:17], s[22:23]
	;; [unrolled: 1-line block ×4, first 2 shown]
	s_and_saveexec_b64 s[16:17], s[18:19]
	s_cbranch_execz .LBB6_49
; %bb.48:                               ;   in Loop: Header=BB6_3 Depth=1
	global_load_ushort v20, v[3:4], off offset:44
	global_load_ushort v21, v[5:6], off offset:2
	s_waitcnt vmcnt(0)
	v_fma_mix_f32 v19, v20, v21, v19 op_sel_hi:[1,1,0]
.LBB6_49:                               ;   in Loop: Header=BB6_3 Depth=1
	s_or_b64 exec, exec, s[16:17]
	s_and_b64 s[10:11], s[10:11], s[6:7]
	s_and_b64 s[10:11], s[10:11], s[22:23]
	;; [unrolled: 1-line block ×4, first 2 shown]
	s_and_saveexec_b64 s[10:11], s[12:13]
	s_cbranch_execz .LBB6_51
; %bb.50:                               ;   in Loop: Header=BB6_3 Depth=1
	global_load_ushort v20, v[3:4], off offset:46
	global_load_ushort v21, v[5:6], off offset:4
	s_waitcnt vmcnt(0)
	v_fma_mix_f32 v19, v20, v21, v19 op_sel_hi:[1,1,0]
.LBB6_51:                               ;   in Loop: Header=BB6_3 Depth=1
	s_or_b64 exec, exec, s[10:11]
	v_mov_b32_e32 v20, s69
	v_add_co_u32_e64 v5, s[10:11], s68, v5
	v_addc_co_u32_e64 v6, s[10:11], v6, v20, s[10:11]
	s_and_b64 s[10:11], s[24:25], s[20:21]
	s_and_b64 s[12:13], s[10:11], vcc
	s_and_b64 s[12:13], s[12:13], s[22:23]
	s_and_b64 s[12:13], s[12:13], s[14:15]
	;; [unrolled: 1-line block ×3, first 2 shown]
	s_and_saveexec_b64 s[0:1], s[12:13]
	s_cbranch_execz .LBB6_53
; %bb.52:                               ;   in Loop: Header=BB6_3 Depth=1
	global_load_ushort v20, v[3:4], off offset:48
	global_load_ushort v21, v[5:6], off
	s_waitcnt vmcnt(0)
	v_fma_mix_f32 v19, v20, v21, v19 op_sel_hi:[1,1,0]
.LBB6_53:                               ;   in Loop: Header=BB6_3 Depth=1
	s_or_b64 exec, exec, s[0:1]
	s_and_b64 s[0:1], s[10:11], s[2:3]
	s_and_b64 s[0:1], s[0:1], s[22:23]
	;; [unrolled: 1-line block ×4, first 2 shown]
	s_and_saveexec_b64 s[0:1], s[2:3]
	s_cbranch_execz .LBB6_55
; %bb.54:                               ;   in Loop: Header=BB6_3 Depth=1
	global_load_ushort v20, v[3:4], off offset:50
	global_load_ushort v21, v[5:6], off offset:2
	s_waitcnt vmcnt(0)
	v_fma_mix_f32 v19, v20, v21, v19 op_sel_hi:[1,1,0]
.LBB6_55:                               ;   in Loop: Header=BB6_3 Depth=1
	s_or_b64 exec, exec, s[0:1]
	s_and_b64 s[0:1], s[10:11], s[6:7]
	s_and_b64 s[0:1], s[0:1], s[22:23]
	;; [unrolled: 1-line block ×4, first 2 shown]
	s_and_saveexec_b64 s[0:1], s[2:3]
	s_cbranch_execz .LBB6_57
; %bb.56:                               ;   in Loop: Header=BB6_3 Depth=1
	global_load_ushort v3, v[3:4], off offset:52
	s_nop 0
	global_load_ushort v4, v[5:6], off offset:4
	s_waitcnt vmcnt(0)
	v_fma_mix_f32 v19, v3, v4, v19 op_sel_hi:[1,1,0]
.LBB6_57:                               ;   in Loop: Header=BB6_3 Depth=1
	s_or_b64 exec, exec, s[0:1]
	s_andn2_b64 vcc, exec, s[62:63]
	s_cbranch_vccnz .LBB6_2
; %bb.58:                               ;   in Loop: Header=BB6_3 Depth=1
	v_lshlrev_b64 v[2:3], 1, v[1:2]
	v_mov_b32_e32 v4, s57
	v_add_co_u32_e32 v2, vcc, s56, v2
	v_addc_co_u32_e32 v3, vcc, v4, v3, vcc
	global_load_ushort v2, v[2:3], off
	s_waitcnt vmcnt(0)
	v_cvt_f32_f16_e32 v2, v2
	v_add_f32_e32 v19, v19, v2
	s_branch .LBB6_2
.LBB6_59:
	s_endpgm
	.section	.rodata,"a",@progbits
	.p2align	6, 0x0
	.amdhsa_kernel _ZN2at6native12_GLOBAL__N_128conv_depthwise3d_cuda_kernelIN3c104HalfEfLi3ELi3ELi3ELi1ELi1ELi1EEEvN5torch10headeronly6detail27GenericPackedTensorAccessorINS7_14TensorAccessorINS3_8ArrayRefIlEEKT_Lm4ENS6_16DefaultPtrTraitsEiEENS_6detail16IndexBoundsCheckILm5EiEESD_Lm5ESE_iEENS8_INS9_ISB_SC_Lm4ESE_iEESI_SC_Lm5ESE_iEESJ_PSD_iiiiiiiii
		.amdhsa_group_segment_fixed_size 0
		.amdhsa_private_segment_fixed_size 0
		.amdhsa_kernarg_size 448
		.amdhsa_user_sgpr_count 6
		.amdhsa_user_sgpr_private_segment_buffer 1
		.amdhsa_user_sgpr_dispatch_ptr 0
		.amdhsa_user_sgpr_queue_ptr 0
		.amdhsa_user_sgpr_kernarg_segment_ptr 1
		.amdhsa_user_sgpr_dispatch_id 0
		.amdhsa_user_sgpr_flat_scratch_init 0
		.amdhsa_user_sgpr_private_segment_size 0
		.amdhsa_uses_dynamic_stack 0
		.amdhsa_system_sgpr_private_segment_wavefront_offset 0
		.amdhsa_system_sgpr_workgroup_id_x 1
		.amdhsa_system_sgpr_workgroup_id_y 0
		.amdhsa_system_sgpr_workgroup_id_z 0
		.amdhsa_system_sgpr_workgroup_info 0
		.amdhsa_system_vgpr_workitem_id 0
		.amdhsa_next_free_vgpr 25
		.amdhsa_next_free_sgpr 88
		.amdhsa_reserve_vcc 1
		.amdhsa_reserve_flat_scratch 0
		.amdhsa_float_round_mode_32 0
		.amdhsa_float_round_mode_16_64 0
		.amdhsa_float_denorm_mode_32 3
		.amdhsa_float_denorm_mode_16_64 3
		.amdhsa_dx10_clamp 1
		.amdhsa_ieee_mode 1
		.amdhsa_fp16_overflow 0
		.amdhsa_exception_fp_ieee_invalid_op 0
		.amdhsa_exception_fp_denorm_src 0
		.amdhsa_exception_fp_ieee_div_zero 0
		.amdhsa_exception_fp_ieee_overflow 0
		.amdhsa_exception_fp_ieee_underflow 0
		.amdhsa_exception_fp_ieee_inexact 0
		.amdhsa_exception_int_div_zero 0
	.end_amdhsa_kernel
	.section	.text._ZN2at6native12_GLOBAL__N_128conv_depthwise3d_cuda_kernelIN3c104HalfEfLi3ELi3ELi3ELi1ELi1ELi1EEEvN5torch10headeronly6detail27GenericPackedTensorAccessorINS7_14TensorAccessorINS3_8ArrayRefIlEEKT_Lm4ENS6_16DefaultPtrTraitsEiEENS_6detail16IndexBoundsCheckILm5EiEESD_Lm5ESE_iEENS8_INS9_ISB_SC_Lm4ESE_iEESI_SC_Lm5ESE_iEESJ_PSD_iiiiiiiii,"axG",@progbits,_ZN2at6native12_GLOBAL__N_128conv_depthwise3d_cuda_kernelIN3c104HalfEfLi3ELi3ELi3ELi1ELi1ELi1EEEvN5torch10headeronly6detail27GenericPackedTensorAccessorINS7_14TensorAccessorINS3_8ArrayRefIlEEKT_Lm4ENS6_16DefaultPtrTraitsEiEENS_6detail16IndexBoundsCheckILm5EiEESD_Lm5ESE_iEENS8_INS9_ISB_SC_Lm4ESE_iEESI_SC_Lm5ESE_iEESJ_PSD_iiiiiiiii,comdat
.Lfunc_end6:
	.size	_ZN2at6native12_GLOBAL__N_128conv_depthwise3d_cuda_kernelIN3c104HalfEfLi3ELi3ELi3ELi1ELi1ELi1EEEvN5torch10headeronly6detail27GenericPackedTensorAccessorINS7_14TensorAccessorINS3_8ArrayRefIlEEKT_Lm4ENS6_16DefaultPtrTraitsEiEENS_6detail16IndexBoundsCheckILm5EiEESD_Lm5ESE_iEENS8_INS9_ISB_SC_Lm4ESE_iEESI_SC_Lm5ESE_iEESJ_PSD_iiiiiiiii, .Lfunc_end6-_ZN2at6native12_GLOBAL__N_128conv_depthwise3d_cuda_kernelIN3c104HalfEfLi3ELi3ELi3ELi1ELi1ELi1EEEvN5torch10headeronly6detail27GenericPackedTensorAccessorINS7_14TensorAccessorINS3_8ArrayRefIlEEKT_Lm4ENS6_16DefaultPtrTraitsEiEENS_6detail16IndexBoundsCheckILm5EiEESD_Lm5ESE_iEENS8_INS9_ISB_SC_Lm4ESE_iEESI_SC_Lm5ESE_iEESJ_PSD_iiiiiiiii
                                        ; -- End function
	.set _ZN2at6native12_GLOBAL__N_128conv_depthwise3d_cuda_kernelIN3c104HalfEfLi3ELi3ELi3ELi1ELi1ELi1EEEvN5torch10headeronly6detail27GenericPackedTensorAccessorINS7_14TensorAccessorINS3_8ArrayRefIlEEKT_Lm4ENS6_16DefaultPtrTraitsEiEENS_6detail16IndexBoundsCheckILm5EiEESD_Lm5ESE_iEENS8_INS9_ISB_SC_Lm4ESE_iEESI_SC_Lm5ESE_iEESJ_PSD_iiiiiiiii.num_vgpr, 25
	.set _ZN2at6native12_GLOBAL__N_128conv_depthwise3d_cuda_kernelIN3c104HalfEfLi3ELi3ELi3ELi1ELi1ELi1EEEvN5torch10headeronly6detail27GenericPackedTensorAccessorINS7_14TensorAccessorINS3_8ArrayRefIlEEKT_Lm4ENS6_16DefaultPtrTraitsEiEENS_6detail16IndexBoundsCheckILm5EiEESD_Lm5ESE_iEENS8_INS9_ISB_SC_Lm4ESE_iEESI_SC_Lm5ESE_iEESJ_PSD_iiiiiiiii.num_agpr, 0
	.set _ZN2at6native12_GLOBAL__N_128conv_depthwise3d_cuda_kernelIN3c104HalfEfLi3ELi3ELi3ELi1ELi1ELi1EEEvN5torch10headeronly6detail27GenericPackedTensorAccessorINS7_14TensorAccessorINS3_8ArrayRefIlEEKT_Lm4ENS6_16DefaultPtrTraitsEiEENS_6detail16IndexBoundsCheckILm5EiEESD_Lm5ESE_iEENS8_INS9_ISB_SC_Lm4ESE_iEESI_SC_Lm5ESE_iEESJ_PSD_iiiiiiiii.numbered_sgpr, 88
	.set _ZN2at6native12_GLOBAL__N_128conv_depthwise3d_cuda_kernelIN3c104HalfEfLi3ELi3ELi3ELi1ELi1ELi1EEEvN5torch10headeronly6detail27GenericPackedTensorAccessorINS7_14TensorAccessorINS3_8ArrayRefIlEEKT_Lm4ENS6_16DefaultPtrTraitsEiEENS_6detail16IndexBoundsCheckILm5EiEESD_Lm5ESE_iEENS8_INS9_ISB_SC_Lm4ESE_iEESI_SC_Lm5ESE_iEESJ_PSD_iiiiiiiii.num_named_barrier, 0
	.set _ZN2at6native12_GLOBAL__N_128conv_depthwise3d_cuda_kernelIN3c104HalfEfLi3ELi3ELi3ELi1ELi1ELi1EEEvN5torch10headeronly6detail27GenericPackedTensorAccessorINS7_14TensorAccessorINS3_8ArrayRefIlEEKT_Lm4ENS6_16DefaultPtrTraitsEiEENS_6detail16IndexBoundsCheckILm5EiEESD_Lm5ESE_iEENS8_INS9_ISB_SC_Lm4ESE_iEESI_SC_Lm5ESE_iEESJ_PSD_iiiiiiiii.private_seg_size, 0
	.set _ZN2at6native12_GLOBAL__N_128conv_depthwise3d_cuda_kernelIN3c104HalfEfLi3ELi3ELi3ELi1ELi1ELi1EEEvN5torch10headeronly6detail27GenericPackedTensorAccessorINS7_14TensorAccessorINS3_8ArrayRefIlEEKT_Lm4ENS6_16DefaultPtrTraitsEiEENS_6detail16IndexBoundsCheckILm5EiEESD_Lm5ESE_iEENS8_INS9_ISB_SC_Lm4ESE_iEESI_SC_Lm5ESE_iEESJ_PSD_iiiiiiiii.uses_vcc, 1
	.set _ZN2at6native12_GLOBAL__N_128conv_depthwise3d_cuda_kernelIN3c104HalfEfLi3ELi3ELi3ELi1ELi1ELi1EEEvN5torch10headeronly6detail27GenericPackedTensorAccessorINS7_14TensorAccessorINS3_8ArrayRefIlEEKT_Lm4ENS6_16DefaultPtrTraitsEiEENS_6detail16IndexBoundsCheckILm5EiEESD_Lm5ESE_iEENS8_INS9_ISB_SC_Lm4ESE_iEESI_SC_Lm5ESE_iEESJ_PSD_iiiiiiiii.uses_flat_scratch, 0
	.set _ZN2at6native12_GLOBAL__N_128conv_depthwise3d_cuda_kernelIN3c104HalfEfLi3ELi3ELi3ELi1ELi1ELi1EEEvN5torch10headeronly6detail27GenericPackedTensorAccessorINS7_14TensorAccessorINS3_8ArrayRefIlEEKT_Lm4ENS6_16DefaultPtrTraitsEiEENS_6detail16IndexBoundsCheckILm5EiEESD_Lm5ESE_iEENS8_INS9_ISB_SC_Lm4ESE_iEESI_SC_Lm5ESE_iEESJ_PSD_iiiiiiiii.has_dyn_sized_stack, 0
	.set _ZN2at6native12_GLOBAL__N_128conv_depthwise3d_cuda_kernelIN3c104HalfEfLi3ELi3ELi3ELi1ELi1ELi1EEEvN5torch10headeronly6detail27GenericPackedTensorAccessorINS7_14TensorAccessorINS3_8ArrayRefIlEEKT_Lm4ENS6_16DefaultPtrTraitsEiEENS_6detail16IndexBoundsCheckILm5EiEESD_Lm5ESE_iEENS8_INS9_ISB_SC_Lm4ESE_iEESI_SC_Lm5ESE_iEESJ_PSD_iiiiiiiii.has_recursion, 0
	.set _ZN2at6native12_GLOBAL__N_128conv_depthwise3d_cuda_kernelIN3c104HalfEfLi3ELi3ELi3ELi1ELi1ELi1EEEvN5torch10headeronly6detail27GenericPackedTensorAccessorINS7_14TensorAccessorINS3_8ArrayRefIlEEKT_Lm4ENS6_16DefaultPtrTraitsEiEENS_6detail16IndexBoundsCheckILm5EiEESD_Lm5ESE_iEENS8_INS9_ISB_SC_Lm4ESE_iEESI_SC_Lm5ESE_iEESJ_PSD_iiiiiiiii.has_indirect_call, 0
	.section	.AMDGPU.csdata,"",@progbits
; Kernel info:
; codeLenInByte = 3444
; TotalNumSgprs: 92
; NumVgprs: 25
; ScratchSize: 0
; MemoryBound: 0
; FloatMode: 240
; IeeeMode: 1
; LDSByteSize: 0 bytes/workgroup (compile time only)
; SGPRBlocks: 11
; VGPRBlocks: 6
; NumSGPRsForWavesPerEU: 92
; NumVGPRsForWavesPerEU: 25
; Occupancy: 8
; WaveLimiterHint : 0
; COMPUTE_PGM_RSRC2:SCRATCH_EN: 0
; COMPUTE_PGM_RSRC2:USER_SGPR: 6
; COMPUTE_PGM_RSRC2:TRAP_HANDLER: 0
; COMPUTE_PGM_RSRC2:TGID_X_EN: 1
; COMPUTE_PGM_RSRC2:TGID_Y_EN: 0
; COMPUTE_PGM_RSRC2:TGID_Z_EN: 0
; COMPUTE_PGM_RSRC2:TIDIG_COMP_CNT: 0
	.section	.text._ZN2at6native12_GLOBAL__N_128conv_depthwise3d_cuda_kernelIN3c104HalfEfLin1ELin1ELin1ELi1ELi1ELi1EEEvN5torch10headeronly6detail27GenericPackedTensorAccessorINS7_14TensorAccessorINS3_8ArrayRefIlEEKT_Lm4ENS6_16DefaultPtrTraitsEiEENS_6detail16IndexBoundsCheckILm5EiEESD_Lm5ESE_iEENS8_INS9_ISB_SC_Lm4ESE_iEESI_SC_Lm5ESE_iEESJ_PSD_iiiiiiiii,"axG",@progbits,_ZN2at6native12_GLOBAL__N_128conv_depthwise3d_cuda_kernelIN3c104HalfEfLin1ELin1ELin1ELi1ELi1ELi1EEEvN5torch10headeronly6detail27GenericPackedTensorAccessorINS7_14TensorAccessorINS3_8ArrayRefIlEEKT_Lm4ENS6_16DefaultPtrTraitsEiEENS_6detail16IndexBoundsCheckILm5EiEESD_Lm5ESE_iEENS8_INS9_ISB_SC_Lm4ESE_iEESI_SC_Lm5ESE_iEESJ_PSD_iiiiiiiii,comdat
	.globl	_ZN2at6native12_GLOBAL__N_128conv_depthwise3d_cuda_kernelIN3c104HalfEfLin1ELin1ELin1ELi1ELi1ELi1EEEvN5torch10headeronly6detail27GenericPackedTensorAccessorINS7_14TensorAccessorINS3_8ArrayRefIlEEKT_Lm4ENS6_16DefaultPtrTraitsEiEENS_6detail16IndexBoundsCheckILm5EiEESD_Lm5ESE_iEENS8_INS9_ISB_SC_Lm4ESE_iEESI_SC_Lm5ESE_iEESJ_PSD_iiiiiiiii ; -- Begin function _ZN2at6native12_GLOBAL__N_128conv_depthwise3d_cuda_kernelIN3c104HalfEfLin1ELin1ELin1ELi1ELi1ELi1EEEvN5torch10headeronly6detail27GenericPackedTensorAccessorINS7_14TensorAccessorINS3_8ArrayRefIlEEKT_Lm4ENS6_16DefaultPtrTraitsEiEENS_6detail16IndexBoundsCheckILm5EiEESD_Lm5ESE_iEENS8_INS9_ISB_SC_Lm4ESE_iEESI_SC_Lm5ESE_iEESJ_PSD_iiiiiiiii
	.p2align	8
	.type	_ZN2at6native12_GLOBAL__N_128conv_depthwise3d_cuda_kernelIN3c104HalfEfLin1ELin1ELin1ELi1ELi1ELi1EEEvN5torch10headeronly6detail27GenericPackedTensorAccessorINS7_14TensorAccessorINS3_8ArrayRefIlEEKT_Lm4ENS6_16DefaultPtrTraitsEiEENS_6detail16IndexBoundsCheckILm5EiEESD_Lm5ESE_iEENS8_INS9_ISB_SC_Lm4ESE_iEESI_SC_Lm5ESE_iEESJ_PSD_iiiiiiiii,@function
_ZN2at6native12_GLOBAL__N_128conv_depthwise3d_cuda_kernelIN3c104HalfEfLin1ELin1ELin1ELi1ELi1ELi1EEEvN5torch10headeronly6detail27GenericPackedTensorAccessorINS7_14TensorAccessorINS3_8ArrayRefIlEEKT_Lm4ENS6_16DefaultPtrTraitsEiEENS_6detail16IndexBoundsCheckILm5EiEESD_Lm5ESE_iEENS8_INS9_ISB_SC_Lm4ESE_iEESI_SC_Lm5ESE_iEESJ_PSD_iiiiiiiii: ; @_ZN2at6native12_GLOBAL__N_128conv_depthwise3d_cuda_kernelIN3c104HalfEfLin1ELin1ELin1ELi1ELi1ELi1EEEvN5torch10headeronly6detail27GenericPackedTensorAccessorINS7_14TensorAccessorINS3_8ArrayRefIlEEKT_Lm4ENS6_16DefaultPtrTraitsEiEENS_6detail16IndexBoundsCheckILm5EiEESD_Lm5ESE_iEENS8_INS9_ISB_SC_Lm4ESE_iEESI_SC_Lm5ESE_iEESJ_PSD_iiiiiiiii
; %bb.0:
	s_load_dwordx4 s[8:11], s[4:5], 0xc
	s_load_dwordx4 s[12:15], s[4:5], 0x38
	s_load_dwordx2 s[34:35], s[4:5], 0x48
	s_load_dword s3, s[4:5], 0xcc
	v_mov_b32_e32 v1, 0
	v_mov_b32_e32 v3, s6
	s_waitcnt lgkmcnt(0)
	s_abs_i32 s2, s8
	v_cvt_f32_u32_e32 v2, s2
	s_add_u32 s0, s4, 0xc0
	s_addc_u32 s1, s5, 0
	s_and_b32 s6, s3, 0xffff
	v_rcp_iflag_f32_e32 v2, v2
	v_mad_u64_u32 v[0:1], s[16:17], s6, v3, v[0:1]
	s_mul_i32 s36, s35, s12
	v_mul_f32_e32 v2, 0x4f7ffffe, v2
	v_cvt_u32_f32_e32 v2, v2
	s_ashr_i32 s37, s36, 31
	v_cmp_gt_i64_e32 vcc, s[36:37], v[0:1]
	v_readfirstlane_b32 s3, v2
	s_and_saveexec_b64 s[16:17], vcc
	s_cbranch_execz .LBB7_17
; %bb.1:
	s_sub_i32 s16, 0, s2
	s_mul_i32 s16, s16, s3
	s_mul_hi_u32 s16, s3, s16
	s_ashr_i32 s7, s8, 31
	s_abs_i32 s8, s13
	s_add_i32 s3, s3, s16
	s_mul_hi_u32 s3, s8, s3
	s_load_dwordx2 s[38:39], s[4:5], 0x90
	s_load_dwordx4 s[16:19], s[4:5], 0x98
	s_load_dwordx2 s[40:41], s[4:5], 0xa8
	s_load_dwordx4 s[20:23], s[4:5], 0x70
	s_waitcnt lgkmcnt(0)
	s_mul_i32 s23, s3, s2
	s_ashr_i32 s12, s13, 31
	s_sub_i32 s23, s8, s23
	s_xor_b32 s7, s12, s7
	s_add_i32 s24, s3, 1
	s_sub_i32 s25, s23, s2
	s_cmp_ge_u32 s23, s2
	s_cselect_b32 s3, s24, s3
	s_cselect_b32 s23, s25, s23
	s_add_i32 s24, s3, 1
	s_cmp_ge_u32 s23, s2
	s_cselect_b32 s2, s24, s3
	s_xor_b32 s2, s2, s7
	s_sub_i32 s7, s2, s7
	s_cmp_gt_i32 s20, 0
	s_cselect_b64 s[56:57], -1, 0
	s_cmp_gt_i32 s21, 0
	s_cselect_b64 s[44:45], -1, 0
	;; [unrolled: 2-line block ×3, first 2 shown]
	s_sub_i32 s2, s10, s21
	s_load_dword s58, s[0:1], 0x0
	s_load_dword s23, s[4:5], 0x7c
	s_load_dwordx2 s[42:43], s[4:5], 0x0
	s_load_dwordx4 s[24:27], s[4:5], 0x1c
	s_sub_i32 s0, s11, s22
	s_mul_i32 s2, s11, s2
	s_ashr_i32 s1, s0, 31
	s_ashr_i32 s3, s2, 31
	s_cmp_lg_u64 s[38:39], 0
	s_cselect_b64 s[48:49], -1, 0
	s_abs_i32 s33, s34
	v_cvt_f32_u32_e32 v2, s33
	s_load_dword s62, s[4:5], 0x2c
	s_load_dwordx2 s[50:51], s[4:5], 0x30
	s_load_dwordx2 s[54:55], s[4:5], 0x60
	s_load_dwordx4 s[28:31], s[4:5], 0x50
	s_sub_i32 s4, 0, s33
	v_rcp_iflag_f32_e32 v2, v2
	s_abs_i32 s65, s14
	v_cvt_f32_u32_e32 v5, s65
	s_abs_i32 s63, s15
	v_mul_f32_e32 v2, 0x4f7ffffe, v2
	v_cvt_u32_f32_e32 v2, v2
	v_rcp_iflag_f32_e32 v5, v5
	v_cvt_f32_u32_e32 v3, s63
	s_abs_i32 s67, s7
	v_mul_lo_u32 v4, s4, v2
	v_cvt_f32_u32_e32 v7, s67
	v_rcp_iflag_f32_e32 v3, v3
	s_sub_i32 s4, 0, s63
	v_mul_hi_u32 v4, v2, v4
	v_rcp_iflag_f32_e32 v7, v7
	v_mul_f32_e32 v3, 0x4f7ffffe, v3
	v_cvt_u32_f32_e32 v3, v3
	v_add_u32_e32 v8, v2, v4
	v_mul_f32_e32 v4, 0x4f7ffffe, v5
	v_cvt_f32_u32_e32 v5, s8
	v_cvt_u32_f32_e32 v4, v4
	v_mul_f32_e32 v7, 0x4f7ffffe, v7
	v_mul_lo_u32 v6, s4, v3
	v_rcp_iflag_f32_e32 v5, v5
	v_cvt_u32_f32_e32 v7, v7
	s_sub_i32 s4, 0, s65
	v_mul_lo_u32 v9, s4, v4
	v_mul_f32_e32 v5, 0x4f7ffffe, v5
	v_cvt_u32_f32_e32 v5, v5
	s_sub_i32 s4, 0, s8
	v_mul_hi_u32 v2, v3, v6
	v_mul_hi_u32 v12, v4, v9
	v_mul_lo_u32 v10, s4, v5
	s_sub_i32 s4, 0, s67
	v_mul_lo_u32 v11, s4, v7
	v_add_u32_e32 v9, v3, v2
	v_mul_hi_u32 v13, v5, v10
	v_cndmask_b32_e64 v6, 0, 1, s[56:57]
	v_mul_hi_u32 v2, v7, v11
	s_mov_b64 s[52:53], 0
	s_waitcnt lgkmcnt(0)
	s_mul_i32 s64, s58, s6
	s_ashr_i32 s66, s34, 31
	s_ashr_i32 s68, s15, 31
	v_add_u32_e32 v10, v4, v12
	v_add_u32_e32 v11, v5, v13
	s_ashr_i32 s69, s7, 31
	v_add_u32_e32 v12, v7, v2
	s_lshl_b64 s[56:57], s[0:1], 1
	s_lshl_b64 s[58:59], s[2:3], 1
	s_ashr_i32 s70, s14, 31
	v_cmp_ne_u32_e64 s[0:1], 1, v6
	s_branch .LBB7_3
.LBB7_2:                                ;   in Loop: Header=BB7_3 Depth=1
	v_mul_lo_u32 v3, v16, s35
	v_mul_lo_u32 v2, s28, v2
	v_mov_b32_e32 v5, s51
	v_cvt_f16_f32_e32 v6, v20
	v_ashrrev_i32_e32 v4, 31, v3
	v_lshlrev_b64 v[3:4], 1, v[3:4]
	v_add_co_u32_e32 v7, vcc, s50, v3
	v_addc_co_u32_e32 v5, vcc, v5, v4, vcc
	v_ashrrev_i32_e32 v3, 31, v2
	v_mul_lo_u32 v4, s29, v15
	v_lshlrev_b64 v[2:3], 1, v[2:3]
	v_add_co_u32_e32 v7, vcc, v7, v2
	v_addc_co_u32_e32 v15, vcc, v5, v3, vcc
	v_ashrrev_i32_e32 v5, 31, v4
	v_lshlrev_b64 v[2:3], 1, v[4:5]
	v_mul_lo_u32 v4, s30, v14
	v_add_co_u32_e32 v7, vcc, v7, v2
	v_addc_co_u32_e32 v14, vcc, v15, v3, vcc
	v_ashrrev_i32_e32 v5, 31, v4
	v_lshlrev_b64 v[2:3], 1, v[4:5]
	v_mul_lo_u32 v4, s31, v13
	v_add_co_u32_e32 v7, vcc, v7, v2
	v_addc_co_u32_e32 v13, vcc, v14, v3, vcc
	v_ashrrev_i32_e32 v5, 31, v4
	v_add_co_u32_e32 v0, vcc, s64, v0
	v_lshlrev_b64 v[2:3], 1, v[4:5]
	v_addc_co_u32_e32 v1, vcc, 0, v1, vcc
	v_cmp_le_i64_e32 vcc, s[36:37], v[0:1]
	v_add_co_u32_e64 v2, s[2:3], v7, v2
	v_addc_co_u32_e64 v3, s[2:3], v13, v3, s[2:3]
	s_or_b64 s[52:53], vcc, s[52:53]
	global_store_short v[2:3], v6, off
	s_andn2_b64 exec, exec, s[52:53]
	s_cbranch_execz .LBB7_17
.LBB7_3:                                ; =>This Loop Header: Depth=1
                                        ;     Child Loop BB7_6 Depth 2
                                        ;       Child Loop BB7_9 Depth 3
                                        ;         Child Loop BB7_12 Depth 4
	v_sub_u32_e32 v2, 0, v0
	v_max_i32_e32 v2, v0, v2
	v_mul_hi_u32 v3, v2, v8
	v_ashrrev_i32_e32 v5, 31, v0
	v_xor_b32_e32 v5, s66, v5
	v_mul_lo_u32 v4, v3, s33
	v_add_u32_e32 v6, 1, v3
	v_sub_u32_e32 v2, v2, v4
	v_cmp_le_u32_e32 vcc, s33, v2
	v_subrev_u32_e32 v4, s33, v2
	v_cndmask_b32_e32 v3, v3, v6, vcc
	v_cndmask_b32_e32 v2, v2, v4, vcc
	v_add_u32_e32 v4, 1, v3
	v_cmp_le_u32_e32 vcc, s33, v2
	v_cndmask_b32_e32 v2, v3, v4, vcc
	v_xor_b32_e32 v2, v2, v5
	v_sub_u32_e32 v2, v2, v5
	v_sub_u32_e32 v3, 0, v2
	v_max_i32_e32 v3, v2, v3
	v_mul_hi_u32 v4, v3, v9
	v_ashrrev_i32_e32 v6, 31, v2
	v_xor_b32_e32 v6, s68, v6
	v_mul_lo_u32 v5, v4, s63
	v_add_u32_e32 v7, 1, v4
	v_sub_u32_e32 v3, v3, v5
	v_cmp_le_u32_e32 vcc, s63, v3
	v_subrev_u32_e32 v5, s63, v3
	v_cndmask_b32_e32 v4, v4, v7, vcc
	v_cndmask_b32_e32 v3, v3, v5, vcc
	v_add_u32_e32 v5, 1, v4
	v_cmp_le_u32_e32 vcc, s63, v3
	v_cndmask_b32_e32 v3, v4, v5, vcc
	v_xor_b32_e32 v3, v3, v6
	v_sub_u32_e32 v3, v3, v6
	v_sub_u32_e32 v4, 0, v3
	v_max_i32_e32 v4, v3, v4
	v_mul_hi_u32 v5, v4, v10
	v_ashrrev_i32_e32 v7, 31, v3
	v_xor_b32_e32 v7, s70, v7
	v_mul_lo_u32 v14, v3, s15
	v_mul_lo_u32 v6, v5, s65
	v_add_u32_e32 v13, 1, v5
	v_sub_u32_e32 v14, v2, v14
	v_sub_u32_e32 v4, v4, v6
	v_cmp_le_u32_e32 vcc, s65, v4
	v_subrev_u32_e32 v6, s65, v4
	v_cndmask_b32_e32 v5, v5, v13, vcc
	v_cndmask_b32_e32 v4, v4, v6, vcc
	v_add_u32_e32 v6, 1, v5
	v_cmp_le_u32_e32 vcc, s65, v4
	v_cndmask_b32_e32 v4, v5, v6, vcc
	v_xor_b32_e32 v4, v4, v7
	v_sub_u32_e32 v4, v4, v7
	v_sub_u32_e32 v5, 0, v4
	v_max_i32_e32 v5, v4, v5
	v_mul_hi_u32 v6, v5, v11
	v_ashrrev_i32_e32 v16, 31, v4
	v_xor_b32_e32 v16, s12, v16
	v_mul_lo_u32 v7, v2, s34
	v_mul_lo_u32 v13, v6, s8
	;; [unrolled: 1-line block ×3, first 2 shown]
	v_sub_u32_e32 v5, v5, v13
	v_add_u32_e32 v13, 1, v6
	v_cmp_le_u32_e32 vcc, s8, v5
	v_cndmask_b32_e32 v6, v6, v13, vcc
	v_subrev_u32_e32 v13, s8, v5
	v_cndmask_b32_e32 v5, v5, v13, vcc
	v_add_u32_e32 v13, 1, v6
	v_cmp_le_u32_e32 vcc, s8, v5
	v_cndmask_b32_e32 v5, v6, v13, vcc
	v_xor_b32_e32 v5, v5, v16
	v_sub_u32_e32 v16, v5, v16
	v_mul_lo_u32 v5, v16, s13
	v_sub_u32_e32 v13, v0, v7
	v_sub_u32_e32 v15, v3, v15
	s_and_b64 vcc, exec, s[0:1]
	v_sub_u32_e32 v2, v4, v5
	v_ashrrev_i32_e32 v3, 31, v2
	s_cbranch_vccnz .LBB7_14
; %bb.4:                                ;   in Loop: Header=BB7_3 Depth=1
	v_mul_lo_u32 v5, v13, s18
	v_mul_lo_u32 v6, v14, s17
	;; [unrolled: 1-line block ×3, first 2 shown]
	v_xor_b32_e32 v22, s69, v3
	v_subrev_u32_e32 v17, s41, v5
	v_sub_u32_e32 v5, 0, v2
	v_max_i32_e32 v20, v2, v5
	v_mul_hi_u32 v21, v20, v12
	v_subrev_u32_e32 v18, s40, v6
	v_mul_lo_u32 v7, v15, s16
	v_ashrrev_i32_e32 v5, 31, v4
	v_mul_lo_u32 v6, v21, s67
	v_lshlrev_b64 v[4:5], 1, v[4:5]
	v_subrev_u32_e32 v19, s19, v7
	v_mov_b32_e32 v7, s43
	v_sub_u32_e32 v6, v20, v6
	v_add_u32_e32 v20, 1, v21
	v_cmp_le_u32_e32 vcc, s67, v6
	v_cndmask_b32_e32 v20, v21, v20, vcc
	v_subrev_u32_e32 v21, s67, v6
	v_cndmask_b32_e32 v6, v6, v21, vcc
	v_add_u32_e32 v21, 1, v20
	v_cmp_le_u32_e32 vcc, s67, v6
	v_cndmask_b32_e32 v6, v20, v21, vcc
	v_xor_b32_e32 v6, v6, v22
	v_sub_u32_e32 v6, v6, v22
	v_mul_lo_u32 v6, s25, v6
	v_add_co_u32_e32 v20, vcc, s42, v4
	v_addc_co_u32_e32 v21, vcc, v7, v5, vcc
	v_ashrrev_i32_e32 v7, 31, v6
	v_lshlrev_b64 v[4:5], 1, v[6:7]
	v_mul_lo_u32 v6, s26, v19
	v_add_co_u32_e32 v20, vcc, v20, v4
	v_addc_co_u32_e32 v21, vcc, v21, v5, vcc
	v_ashrrev_i32_e32 v7, 31, v6
	v_lshlrev_b64 v[4:5], 1, v[6:7]
	v_mul_lo_u32 v6, s27, v18
	v_add_co_u32_e32 v20, vcc, v20, v4
	v_addc_co_u32_e32 v21, vcc, v21, v5, vcc
	v_ashrrev_i32_e32 v7, 31, v6
	v_lshlrev_b64 v[4:5], 1, v[6:7]
	v_mul_lo_u32 v6, s62, v17
	v_add_co_u32_e32 v20, vcc, v20, v4
	v_addc_co_u32_e32 v21, vcc, v21, v5, vcc
	v_ashrrev_i32_e32 v7, 31, v6
	v_lshlrev_b64 v[4:5], 1, v[6:7]
	v_mul_lo_u32 v6, s23, v2
	v_add_co_u32_e32 v4, vcc, v20, v4
	v_addc_co_u32_e32 v5, vcc, v21, v5, vcc
	v_ashrrev_i32_e32 v7, 31, v6
	v_lshlrev_b64 v[6:7], 1, v[6:7]
	v_mov_b32_e32 v20, s55
	v_add_co_u32_e32 v6, vcc, s54, v6
	s_mov_b32 s71, 0
	v_addc_co_u32_e32 v7, vcc, v20, v7, vcc
	v_mov_b32_e32 v20, 0
	s_branch .LBB7_6
.LBB7_5:                                ;   in Loop: Header=BB7_6 Depth=2
	v_mov_b32_e32 v21, s59
	s_add_i32 s71, s71, 1
	v_add_co_u32_e32 v4, vcc, s58, v4
	s_cmp_eq_u32 s71, s20
	v_addc_co_u32_e32 v5, vcc, v5, v21, vcc
	s_cbranch_scc1 .LBB7_15
.LBB7_6:                                ;   Parent Loop BB7_3 Depth=1
                                        ; =>  This Loop Header: Depth=2
                                        ;       Child Loop BB7_9 Depth 3
                                        ;         Child Loop BB7_12 Depth 4
	s_andn2_b64 vcc, exec, s[44:45]
	s_cbranch_vccnz .LBB7_5
; %bb.7:                                ;   in Loop: Header=BB7_6 Depth=2
	v_add_u32_e32 v21, s71, v19
	v_cmp_lt_i32_e64 s[2:3], -1, v21
	v_cmp_gt_i32_e64 s[4:5], s9, v21
	s_mov_b32 s72, 0
	s_branch .LBB7_9
.LBB7_8:                                ;   in Loop: Header=BB7_9 Depth=3
	v_mov_b32_e32 v21, s57
	s_add_i32 s72, s72, 1
	v_add_co_u32_e32 v4, vcc, s56, v4
	s_cmp_eq_u32 s72, s21
	v_addc_co_u32_e32 v5, vcc, v5, v21, vcc
	s_cbranch_scc1 .LBB7_5
.LBB7_9:                                ;   Parent Loop BB7_3 Depth=1
                                        ;     Parent Loop BB7_6 Depth=2
                                        ; =>    This Loop Header: Depth=3
                                        ;         Child Loop BB7_12 Depth 4
	s_andn2_b64 vcc, exec, s[46:47]
	s_cbranch_vccnz .LBB7_8
; %bb.10:                               ;   in Loop: Header=BB7_9 Depth=3
	v_add_u32_e32 v21, s72, v18
	v_cmp_lt_i32_e32 vcc, -1, v21
	s_and_b64 s[60:61], s[2:3], vcc
	v_cmp_gt_i32_e32 vcc, s10, v21
	v_mov_b32_e32 v21, v17
	s_mov_b32 s73, s22
	s_branch .LBB7_12
.LBB7_11:                               ;   in Loop: Header=BB7_12 Depth=4
	s_or_b64 exec, exec, s[6:7]
	v_add_co_u32_e64 v6, s[6:7], 2, v6
	v_addc_co_u32_e64 v7, s[6:7], 0, v7, s[6:7]
	v_add_co_u32_e64 v4, s[6:7], 2, v4
	s_add_i32 s73, s73, -1
	v_addc_co_u32_e64 v5, s[6:7], 0, v5, s[6:7]
	s_cmp_eq_u32 s73, 0
	v_add_u32_e32 v21, 1, v21
	s_cbranch_scc1 .LBB7_8
.LBB7_12:                               ;   Parent Loop BB7_3 Depth=1
                                        ;     Parent Loop BB7_6 Depth=2
                                        ;       Parent Loop BB7_9 Depth=3
                                        ; =>      This Inner Loop Header: Depth=4
	v_cmp_lt_i32_e64 s[6:7], -1, v21
	s_and_b64 s[6:7], s[60:61], s[6:7]
	s_and_b64 s[6:7], s[6:7], s[4:5]
	s_and_b64 s[74:75], s[6:7], vcc
	v_cmp_gt_i32_e64 s[6:7], s11, v21
	s_and_b64 s[74:75], s[74:75], s[6:7]
	s_and_saveexec_b64 s[6:7], s[74:75]
	s_cbranch_execz .LBB7_11
; %bb.13:                               ;   in Loop: Header=BB7_12 Depth=4
	global_load_ushort v22, v[6:7], off
	global_load_ushort v23, v[4:5], off
	s_waitcnt vmcnt(0)
	v_fma_mix_f32 v20, v22, v23, v20 op_sel_hi:[1,1,0]
	s_branch .LBB7_11
.LBB7_14:                               ;   in Loop: Header=BB7_3 Depth=1
	v_mov_b32_e32 v20, 0
.LBB7_15:                               ;   in Loop: Header=BB7_3 Depth=1
	s_and_b64 vcc, exec, s[48:49]
	s_cbranch_vccz .LBB7_2
; %bb.16:                               ;   in Loop: Header=BB7_3 Depth=1
	v_lshlrev_b64 v[3:4], 1, v[2:3]
	v_mov_b32_e32 v5, s39
	v_add_co_u32_e32 v3, vcc, s38, v3
	v_addc_co_u32_e32 v4, vcc, v5, v4, vcc
	global_load_ushort v3, v[3:4], off
	s_waitcnt vmcnt(0)
	v_cvt_f32_f16_e32 v3, v3
	v_add_f32_e32 v20, v20, v3
	s_branch .LBB7_2
.LBB7_17:
	s_endpgm
	.section	.rodata,"a",@progbits
	.p2align	6, 0x0
	.amdhsa_kernel _ZN2at6native12_GLOBAL__N_128conv_depthwise3d_cuda_kernelIN3c104HalfEfLin1ELin1ELin1ELi1ELi1ELi1EEEvN5torch10headeronly6detail27GenericPackedTensorAccessorINS7_14TensorAccessorINS3_8ArrayRefIlEEKT_Lm4ENS6_16DefaultPtrTraitsEiEENS_6detail16IndexBoundsCheckILm5EiEESD_Lm5ESE_iEENS8_INS9_ISB_SC_Lm4ESE_iEESI_SC_Lm5ESE_iEESJ_PSD_iiiiiiiii
		.amdhsa_group_segment_fixed_size 0
		.amdhsa_private_segment_fixed_size 0
		.amdhsa_kernarg_size 448
		.amdhsa_user_sgpr_count 6
		.amdhsa_user_sgpr_private_segment_buffer 1
		.amdhsa_user_sgpr_dispatch_ptr 0
		.amdhsa_user_sgpr_queue_ptr 0
		.amdhsa_user_sgpr_kernarg_segment_ptr 1
		.amdhsa_user_sgpr_dispatch_id 0
		.amdhsa_user_sgpr_flat_scratch_init 0
		.amdhsa_user_sgpr_private_segment_size 0
		.amdhsa_uses_dynamic_stack 0
		.amdhsa_system_sgpr_private_segment_wavefront_offset 0
		.amdhsa_system_sgpr_workgroup_id_x 1
		.amdhsa_system_sgpr_workgroup_id_y 0
		.amdhsa_system_sgpr_workgroup_id_z 0
		.amdhsa_system_sgpr_workgroup_info 0
		.amdhsa_system_vgpr_workitem_id 0
		.amdhsa_next_free_vgpr 24
		.amdhsa_next_free_sgpr 76
		.amdhsa_reserve_vcc 1
		.amdhsa_reserve_flat_scratch 0
		.amdhsa_float_round_mode_32 0
		.amdhsa_float_round_mode_16_64 0
		.amdhsa_float_denorm_mode_32 3
		.amdhsa_float_denorm_mode_16_64 3
		.amdhsa_dx10_clamp 1
		.amdhsa_ieee_mode 1
		.amdhsa_fp16_overflow 0
		.amdhsa_exception_fp_ieee_invalid_op 0
		.amdhsa_exception_fp_denorm_src 0
		.amdhsa_exception_fp_ieee_div_zero 0
		.amdhsa_exception_fp_ieee_overflow 0
		.amdhsa_exception_fp_ieee_underflow 0
		.amdhsa_exception_fp_ieee_inexact 0
		.amdhsa_exception_int_div_zero 0
	.end_amdhsa_kernel
	.section	.text._ZN2at6native12_GLOBAL__N_128conv_depthwise3d_cuda_kernelIN3c104HalfEfLin1ELin1ELin1ELi1ELi1ELi1EEEvN5torch10headeronly6detail27GenericPackedTensorAccessorINS7_14TensorAccessorINS3_8ArrayRefIlEEKT_Lm4ENS6_16DefaultPtrTraitsEiEENS_6detail16IndexBoundsCheckILm5EiEESD_Lm5ESE_iEENS8_INS9_ISB_SC_Lm4ESE_iEESI_SC_Lm5ESE_iEESJ_PSD_iiiiiiiii,"axG",@progbits,_ZN2at6native12_GLOBAL__N_128conv_depthwise3d_cuda_kernelIN3c104HalfEfLin1ELin1ELin1ELi1ELi1ELi1EEEvN5torch10headeronly6detail27GenericPackedTensorAccessorINS7_14TensorAccessorINS3_8ArrayRefIlEEKT_Lm4ENS6_16DefaultPtrTraitsEiEENS_6detail16IndexBoundsCheckILm5EiEESD_Lm5ESE_iEENS8_INS9_ISB_SC_Lm4ESE_iEESI_SC_Lm5ESE_iEESJ_PSD_iiiiiiiii,comdat
.Lfunc_end7:
	.size	_ZN2at6native12_GLOBAL__N_128conv_depthwise3d_cuda_kernelIN3c104HalfEfLin1ELin1ELin1ELi1ELi1ELi1EEEvN5torch10headeronly6detail27GenericPackedTensorAccessorINS7_14TensorAccessorINS3_8ArrayRefIlEEKT_Lm4ENS6_16DefaultPtrTraitsEiEENS_6detail16IndexBoundsCheckILm5EiEESD_Lm5ESE_iEENS8_INS9_ISB_SC_Lm4ESE_iEESI_SC_Lm5ESE_iEESJ_PSD_iiiiiiiii, .Lfunc_end7-_ZN2at6native12_GLOBAL__N_128conv_depthwise3d_cuda_kernelIN3c104HalfEfLin1ELin1ELin1ELi1ELi1ELi1EEEvN5torch10headeronly6detail27GenericPackedTensorAccessorINS7_14TensorAccessorINS3_8ArrayRefIlEEKT_Lm4ENS6_16DefaultPtrTraitsEiEENS_6detail16IndexBoundsCheckILm5EiEESD_Lm5ESE_iEENS8_INS9_ISB_SC_Lm4ESE_iEESI_SC_Lm5ESE_iEESJ_PSD_iiiiiiiii
                                        ; -- End function
	.set _ZN2at6native12_GLOBAL__N_128conv_depthwise3d_cuda_kernelIN3c104HalfEfLin1ELin1ELin1ELi1ELi1ELi1EEEvN5torch10headeronly6detail27GenericPackedTensorAccessorINS7_14TensorAccessorINS3_8ArrayRefIlEEKT_Lm4ENS6_16DefaultPtrTraitsEiEENS_6detail16IndexBoundsCheckILm5EiEESD_Lm5ESE_iEENS8_INS9_ISB_SC_Lm4ESE_iEESI_SC_Lm5ESE_iEESJ_PSD_iiiiiiiii.num_vgpr, 24
	.set _ZN2at6native12_GLOBAL__N_128conv_depthwise3d_cuda_kernelIN3c104HalfEfLin1ELin1ELin1ELi1ELi1ELi1EEEvN5torch10headeronly6detail27GenericPackedTensorAccessorINS7_14TensorAccessorINS3_8ArrayRefIlEEKT_Lm4ENS6_16DefaultPtrTraitsEiEENS_6detail16IndexBoundsCheckILm5EiEESD_Lm5ESE_iEENS8_INS9_ISB_SC_Lm4ESE_iEESI_SC_Lm5ESE_iEESJ_PSD_iiiiiiiii.num_agpr, 0
	.set _ZN2at6native12_GLOBAL__N_128conv_depthwise3d_cuda_kernelIN3c104HalfEfLin1ELin1ELin1ELi1ELi1ELi1EEEvN5torch10headeronly6detail27GenericPackedTensorAccessorINS7_14TensorAccessorINS3_8ArrayRefIlEEKT_Lm4ENS6_16DefaultPtrTraitsEiEENS_6detail16IndexBoundsCheckILm5EiEESD_Lm5ESE_iEENS8_INS9_ISB_SC_Lm4ESE_iEESI_SC_Lm5ESE_iEESJ_PSD_iiiiiiiii.numbered_sgpr, 76
	.set _ZN2at6native12_GLOBAL__N_128conv_depthwise3d_cuda_kernelIN3c104HalfEfLin1ELin1ELin1ELi1ELi1ELi1EEEvN5torch10headeronly6detail27GenericPackedTensorAccessorINS7_14TensorAccessorINS3_8ArrayRefIlEEKT_Lm4ENS6_16DefaultPtrTraitsEiEENS_6detail16IndexBoundsCheckILm5EiEESD_Lm5ESE_iEENS8_INS9_ISB_SC_Lm4ESE_iEESI_SC_Lm5ESE_iEESJ_PSD_iiiiiiiii.num_named_barrier, 0
	.set _ZN2at6native12_GLOBAL__N_128conv_depthwise3d_cuda_kernelIN3c104HalfEfLin1ELin1ELin1ELi1ELi1ELi1EEEvN5torch10headeronly6detail27GenericPackedTensorAccessorINS7_14TensorAccessorINS3_8ArrayRefIlEEKT_Lm4ENS6_16DefaultPtrTraitsEiEENS_6detail16IndexBoundsCheckILm5EiEESD_Lm5ESE_iEENS8_INS9_ISB_SC_Lm4ESE_iEESI_SC_Lm5ESE_iEESJ_PSD_iiiiiiiii.private_seg_size, 0
	.set _ZN2at6native12_GLOBAL__N_128conv_depthwise3d_cuda_kernelIN3c104HalfEfLin1ELin1ELin1ELi1ELi1ELi1EEEvN5torch10headeronly6detail27GenericPackedTensorAccessorINS7_14TensorAccessorINS3_8ArrayRefIlEEKT_Lm4ENS6_16DefaultPtrTraitsEiEENS_6detail16IndexBoundsCheckILm5EiEESD_Lm5ESE_iEENS8_INS9_ISB_SC_Lm4ESE_iEESI_SC_Lm5ESE_iEESJ_PSD_iiiiiiiii.uses_vcc, 1
	.set _ZN2at6native12_GLOBAL__N_128conv_depthwise3d_cuda_kernelIN3c104HalfEfLin1ELin1ELin1ELi1ELi1ELi1EEEvN5torch10headeronly6detail27GenericPackedTensorAccessorINS7_14TensorAccessorINS3_8ArrayRefIlEEKT_Lm4ENS6_16DefaultPtrTraitsEiEENS_6detail16IndexBoundsCheckILm5EiEESD_Lm5ESE_iEENS8_INS9_ISB_SC_Lm4ESE_iEESI_SC_Lm5ESE_iEESJ_PSD_iiiiiiiii.uses_flat_scratch, 0
	.set _ZN2at6native12_GLOBAL__N_128conv_depthwise3d_cuda_kernelIN3c104HalfEfLin1ELin1ELin1ELi1ELi1ELi1EEEvN5torch10headeronly6detail27GenericPackedTensorAccessorINS7_14TensorAccessorINS3_8ArrayRefIlEEKT_Lm4ENS6_16DefaultPtrTraitsEiEENS_6detail16IndexBoundsCheckILm5EiEESD_Lm5ESE_iEENS8_INS9_ISB_SC_Lm4ESE_iEESI_SC_Lm5ESE_iEESJ_PSD_iiiiiiiii.has_dyn_sized_stack, 0
	.set _ZN2at6native12_GLOBAL__N_128conv_depthwise3d_cuda_kernelIN3c104HalfEfLin1ELin1ELin1ELi1ELi1ELi1EEEvN5torch10headeronly6detail27GenericPackedTensorAccessorINS7_14TensorAccessorINS3_8ArrayRefIlEEKT_Lm4ENS6_16DefaultPtrTraitsEiEENS_6detail16IndexBoundsCheckILm5EiEESD_Lm5ESE_iEENS8_INS9_ISB_SC_Lm4ESE_iEESI_SC_Lm5ESE_iEESJ_PSD_iiiiiiiii.has_recursion, 0
	.set _ZN2at6native12_GLOBAL__N_128conv_depthwise3d_cuda_kernelIN3c104HalfEfLin1ELin1ELin1ELi1ELi1ELi1EEEvN5torch10headeronly6detail27GenericPackedTensorAccessorINS7_14TensorAccessorINS3_8ArrayRefIlEEKT_Lm4ENS6_16DefaultPtrTraitsEiEENS_6detail16IndexBoundsCheckILm5EiEESD_Lm5ESE_iEENS8_INS9_ISB_SC_Lm4ESE_iEESI_SC_Lm5ESE_iEESJ_PSD_iiiiiiiii.has_indirect_call, 0
	.section	.AMDGPU.csdata,"",@progbits
; Kernel info:
; codeLenInByte = 1800
; TotalNumSgprs: 80
; NumVgprs: 24
; ScratchSize: 0
; MemoryBound: 0
; FloatMode: 240
; IeeeMode: 1
; LDSByteSize: 0 bytes/workgroup (compile time only)
; SGPRBlocks: 9
; VGPRBlocks: 5
; NumSGPRsForWavesPerEU: 80
; NumVGPRsForWavesPerEU: 24
; Occupancy: 10
; WaveLimiterHint : 0
; COMPUTE_PGM_RSRC2:SCRATCH_EN: 0
; COMPUTE_PGM_RSRC2:USER_SGPR: 6
; COMPUTE_PGM_RSRC2:TRAP_HANDLER: 0
; COMPUTE_PGM_RSRC2:TGID_X_EN: 1
; COMPUTE_PGM_RSRC2:TGID_Y_EN: 0
; COMPUTE_PGM_RSRC2:TGID_Z_EN: 0
; COMPUTE_PGM_RSRC2:TIDIG_COMP_CNT: 0
	.section	.text._ZN2at6native12_GLOBAL__N_128conv_depthwise3d_cuda_kernelIN3c104HalfEfLin1ELin1ELin1ELin1ELin1ELin1EEEvN5torch10headeronly6detail27GenericPackedTensorAccessorINS7_14TensorAccessorINS3_8ArrayRefIlEEKT_Lm4ENS6_16DefaultPtrTraitsEiEENS_6detail16IndexBoundsCheckILm5EiEESD_Lm5ESE_iEENS8_INS9_ISB_SC_Lm4ESE_iEESI_SC_Lm5ESE_iEESJ_PSD_iiiiiiiii,"axG",@progbits,_ZN2at6native12_GLOBAL__N_128conv_depthwise3d_cuda_kernelIN3c104HalfEfLin1ELin1ELin1ELin1ELin1ELin1EEEvN5torch10headeronly6detail27GenericPackedTensorAccessorINS7_14TensorAccessorINS3_8ArrayRefIlEEKT_Lm4ENS6_16DefaultPtrTraitsEiEENS_6detail16IndexBoundsCheckILm5EiEESD_Lm5ESE_iEENS8_INS9_ISB_SC_Lm4ESE_iEESI_SC_Lm5ESE_iEESJ_PSD_iiiiiiiii,comdat
	.globl	_ZN2at6native12_GLOBAL__N_128conv_depthwise3d_cuda_kernelIN3c104HalfEfLin1ELin1ELin1ELin1ELin1ELin1EEEvN5torch10headeronly6detail27GenericPackedTensorAccessorINS7_14TensorAccessorINS3_8ArrayRefIlEEKT_Lm4ENS6_16DefaultPtrTraitsEiEENS_6detail16IndexBoundsCheckILm5EiEESD_Lm5ESE_iEENS8_INS9_ISB_SC_Lm4ESE_iEESI_SC_Lm5ESE_iEESJ_PSD_iiiiiiiii ; -- Begin function _ZN2at6native12_GLOBAL__N_128conv_depthwise3d_cuda_kernelIN3c104HalfEfLin1ELin1ELin1ELin1ELin1ELin1EEEvN5torch10headeronly6detail27GenericPackedTensorAccessorINS7_14TensorAccessorINS3_8ArrayRefIlEEKT_Lm4ENS6_16DefaultPtrTraitsEiEENS_6detail16IndexBoundsCheckILm5EiEESD_Lm5ESE_iEENS8_INS9_ISB_SC_Lm4ESE_iEESI_SC_Lm5ESE_iEESJ_PSD_iiiiiiiii
	.p2align	8
	.type	_ZN2at6native12_GLOBAL__N_128conv_depthwise3d_cuda_kernelIN3c104HalfEfLin1ELin1ELin1ELin1ELin1ELin1EEEvN5torch10headeronly6detail27GenericPackedTensorAccessorINS7_14TensorAccessorINS3_8ArrayRefIlEEKT_Lm4ENS6_16DefaultPtrTraitsEiEENS_6detail16IndexBoundsCheckILm5EiEESD_Lm5ESE_iEENS8_INS9_ISB_SC_Lm4ESE_iEESI_SC_Lm5ESE_iEESJ_PSD_iiiiiiiii,@function
_ZN2at6native12_GLOBAL__N_128conv_depthwise3d_cuda_kernelIN3c104HalfEfLin1ELin1ELin1ELin1ELin1ELin1EEEvN5torch10headeronly6detail27GenericPackedTensorAccessorINS7_14TensorAccessorINS3_8ArrayRefIlEEKT_Lm4ENS6_16DefaultPtrTraitsEiEENS_6detail16IndexBoundsCheckILm5EiEESD_Lm5ESE_iEENS8_INS9_ISB_SC_Lm4ESE_iEESI_SC_Lm5ESE_iEESJ_PSD_iiiiiiiii: ; @_ZN2at6native12_GLOBAL__N_128conv_depthwise3d_cuda_kernelIN3c104HalfEfLin1ELin1ELin1ELin1ELin1ELin1EEEvN5torch10headeronly6detail27GenericPackedTensorAccessorINS7_14TensorAccessorINS3_8ArrayRefIlEEKT_Lm4ENS6_16DefaultPtrTraitsEiEENS_6detail16IndexBoundsCheckILm5EiEESD_Lm5ESE_iEENS8_INS9_ISB_SC_Lm4ESE_iEESI_SC_Lm5ESE_iEESJ_PSD_iiiiiiiii
; %bb.0:
	s_load_dwordx4 s[16:19], s[4:5], 0xc
	s_load_dwordx4 s[20:23], s[4:5], 0x38
	s_load_dwordx2 s[34:35], s[4:5], 0x48
	s_load_dword s1, s[4:5], 0xcc
	v_mov_b32_e32 v1, 0
	v_mov_b32_e32 v3, s6
	s_waitcnt lgkmcnt(0)
	s_abs_i32 s0, s16
	v_cvt_f32_u32_e32 v2, s0
	s_add_u32 s2, s4, 0xc0
	s_addc_u32 s3, s5, 0
	s_and_b32 s36, s1, 0xffff
	v_rcp_iflag_f32_e32 v2, v2
	v_mad_u64_u32 v[0:1], s[6:7], s36, v3, v[0:1]
	s_mul_i32 s6, s35, s20
	v_mul_f32_e32 v2, 0x4f7ffffe, v2
	v_cvt_u32_f32_e32 v2, v2
	s_ashr_i32 s7, s6, 31
	v_cmp_gt_i64_e32 vcc, s[6:7], v[0:1]
	v_readfirstlane_b32 s1, v2
	s_and_saveexec_b64 s[8:9], vcc
	s_cbranch_execz .LBB8_17
; %bb.1:
	s_sub_i32 s8, 0, s0
	s_mul_i32 s8, s8, s1
	s_mul_hi_u32 s8, s1, s8
	s_ashr_i32 s28, s16, 31
	s_abs_i32 s16, s21
	s_add_i32 s1, s1, s8
	s_ashr_i32 s20, s21, 31
	s_mul_hi_u32 s1, s16, s1
	s_load_dwordx2 s[40:41], s[4:5], 0x90
	s_load_dwordx8 s[8:15], s[4:5], 0x98
	s_load_dword s42, s[4:5], 0xb8
	s_load_dwordx4 s[24:27], s[4:5], 0x70
	s_waitcnt lgkmcnt(0)
	s_xor_b32 s27, s20, s28
	s_mul_i32 s28, s1, s0
	s_sub_i32 s28, s16, s28
	s_add_i32 s29, s1, 1
	s_sub_i32 s30, s28, s0
	s_cmp_ge_u32 s28, s0
	s_cselect_b32 s1, s29, s1
	s_cselect_b32 s28, s30, s28
	s_add_i32 s29, s1, 1
	s_cmp_ge_u32 s28, s0
	s_cselect_b32 s0, s29, s1
	s_xor_b32 s0, s0, s27
	s_sub_i32 s37, s0, s27
	s_cmp_gt_i32 s24, 0
	s_cselect_b64 s[44:45], -1, 0
	s_cmp_gt_i32 s25, 0
	s_cselect_b64 s[46:47], -1, 0
	s_cmp_gt_i32 s26, 0
	s_mul_i32 s28, s18, s14
	s_mul_i32 s29, s25, s15
	s_cselect_b64 s[48:49], -1, 0
	s_mul_i32 s0, s19, s15
	s_mul_i32 s1, s26, s42
	s_sub_i32 s28, s28, s29
	s_sub_i32 s0, s0, s1
	s_mul_i32 s38, s28, s19
	s_ashr_i32 s43, s42, 31
	s_ashr_i32 s1, s0, 31
	;; [unrolled: 1-line block ×3, first 2 shown]
	s_cmp_lg_u64 s[40:41], 0
	s_cselect_b64 s[50:51], -1, 0
	s_abs_i32 s33, s34
	v_cvt_f32_u32_e32 v2, s33
	s_abs_i32 s68, s23
	v_cvt_f32_u32_e32 v3, s68
	s_load_dword s2, s[2:3], 0x0
	s_nop 0
	s_load_dwordx2 s[52:53], s[4:5], 0x0
	s_load_dwordx4 s[28:31], s[4:5], 0x1c
	v_rcp_iflag_f32_e32 v2, v2
	s_abs_i32 s71, s22
	v_rcp_iflag_f32_e32 v3, v3
	s_waitcnt lgkmcnt(0)
	s_mul_i32 s70, s2, s36
	v_mul_f32_e32 v2, 0x4f7ffffe, v2
	v_cvt_u32_f32_e32 v2, v2
	s_sub_i32 s2, 0, s33
	v_mul_f32_e32 v3, 0x4f7ffffe, v3
	v_cvt_f32_u32_e32 v5, s71
	v_mul_lo_u32 v4, s2, v2
	v_cvt_u32_f32_e32 v3, v3
	s_sub_i32 s2, 0, s68
	v_rcp_iflag_f32_e32 v5, v5
	v_mul_hi_u32 v4, v2, v4
	v_mul_lo_u32 v6, s2, v3
	s_abs_i32 s73, s37
	s_sub_i32 s2, 0, s71
	v_add_u32_e32 v8, v2, v4
	v_mul_f32_e32 v4, 0x4f7ffffe, v5
	v_cvt_f32_u32_e32 v5, s16
	v_mul_hi_u32 v2, v3, v6
	v_cvt_f32_u32_e32 v6, s73
	v_cvt_u32_f32_e32 v4, v4
	v_rcp_iflag_f32_e32 v5, v5
	s_load_dword s27, s[4:5], 0x7c
	v_rcp_iflag_f32_e32 v6, v6
	v_mul_lo_u32 v7, s2, v4
	v_mul_f32_e32 v5, 0x4f7ffffe, v5
	v_cvt_u32_f32_e32 v5, v5
	v_mul_f32_e32 v6, 0x4f7ffffe, v6
	v_cvt_u32_f32_e32 v6, v6
	s_sub_i32 s2, 0, s16
	v_mul_lo_u32 v10, s2, v5
	s_sub_i32 s2, 0, s73
	v_mul_lo_u32 v11, s2, v6
	s_load_dword s69, s[4:5], 0x2c
	s_load_dwordx2 s[54:55], s[4:5], 0x30
	v_add_u32_e32 v9, v3, v2
	v_mul_hi_u32 v2, v4, v7
	v_mul_hi_u32 v3, v5, v10
	;; [unrolled: 1-line block ×3, first 2 shown]
	s_ashr_i32 s76, s37, 31
	s_lshl_b64 s[58:59], s[38:39], 1
	s_load_dwordx2 s[60:61], s[4:5], 0x60
	s_load_dwordx4 s[36:39], s[4:5], 0x50
	s_ashr_i32 s72, s34, 31
	s_ashr_i32 s74, s23, 31
	;; [unrolled: 1-line block ×3, first 2 shown]
	v_add_u32_e32 v10, v4, v2
	v_add_u32_e32 v11, v5, v3
	;; [unrolled: 1-line block ×3, first 2 shown]
	s_lshl_b64 s[56:57], s[0:1], 1
	s_mov_b64 s[62:63], 0
	s_lshl_b64 s[64:65], s[42:43], 1
	s_branch .LBB8_3
.LBB8_2:                                ;   in Loop: Header=BB8_3 Depth=1
	v_mul_lo_u32 v3, v16, s35
	s_waitcnt lgkmcnt(0)
	v_mul_lo_u32 v2, s36, v2
	v_mov_b32_e32 v5, s55
	v_cvt_f16_f32_e32 v6, v20
	v_ashrrev_i32_e32 v4, 31, v3
	v_lshlrev_b64 v[3:4], 1, v[3:4]
	v_add_co_u32_e32 v7, vcc, s54, v3
	v_addc_co_u32_e32 v5, vcc, v5, v4, vcc
	v_ashrrev_i32_e32 v3, 31, v2
	v_mul_lo_u32 v4, s37, v15
	v_lshlrev_b64 v[2:3], 1, v[2:3]
	v_add_co_u32_e32 v7, vcc, v7, v2
	v_addc_co_u32_e32 v15, vcc, v5, v3, vcc
	v_ashrrev_i32_e32 v5, 31, v4
	v_lshlrev_b64 v[2:3], 1, v[4:5]
	v_mul_lo_u32 v4, s38, v14
	v_add_co_u32_e32 v7, vcc, v7, v2
	v_addc_co_u32_e32 v14, vcc, v15, v3, vcc
	v_ashrrev_i32_e32 v5, 31, v4
	v_lshlrev_b64 v[2:3], 1, v[4:5]
	v_mul_lo_u32 v4, s39, v13
	v_add_co_u32_e32 v7, vcc, v7, v2
	v_addc_co_u32_e32 v13, vcc, v14, v3, vcc
	v_ashrrev_i32_e32 v5, 31, v4
	v_add_co_u32_e32 v0, vcc, s70, v0
	v_lshlrev_b64 v[2:3], 1, v[4:5]
	v_addc_co_u32_e32 v1, vcc, 0, v1, vcc
	v_cmp_le_i64_e32 vcc, s[6:7], v[0:1]
	v_add_co_u32_e64 v2, s[0:1], v7, v2
	v_addc_co_u32_e64 v3, s[0:1], v13, v3, s[0:1]
	s_or_b64 s[62:63], vcc, s[62:63]
	global_store_short v[2:3], v6, off
	s_andn2_b64 exec, exec, s[62:63]
	s_cbranch_execz .LBB8_17
.LBB8_3:                                ; =>This Loop Header: Depth=1
                                        ;     Child Loop BB8_6 Depth 2
                                        ;       Child Loop BB8_9 Depth 3
                                        ;         Child Loop BB8_12 Depth 4
	v_sub_u32_e32 v2, 0, v0
	v_max_i32_e32 v2, v0, v2
	v_mul_hi_u32 v3, v2, v8
	v_ashrrev_i32_e32 v5, 31, v0
	v_xor_b32_e32 v5, s72, v5
	v_mul_lo_u32 v4, v3, s33
	v_add_u32_e32 v6, 1, v3
	v_sub_u32_e32 v2, v2, v4
	v_cmp_le_u32_e32 vcc, s33, v2
	v_subrev_u32_e32 v4, s33, v2
	v_cndmask_b32_e32 v3, v3, v6, vcc
	v_cndmask_b32_e32 v2, v2, v4, vcc
	v_add_u32_e32 v4, 1, v3
	v_cmp_le_u32_e32 vcc, s33, v2
	v_cndmask_b32_e32 v2, v3, v4, vcc
	v_xor_b32_e32 v2, v2, v5
	v_sub_u32_e32 v2, v2, v5
	v_sub_u32_e32 v3, 0, v2
	v_max_i32_e32 v3, v2, v3
	v_mul_hi_u32 v4, v3, v9
	v_ashrrev_i32_e32 v6, 31, v2
	v_xor_b32_e32 v6, s74, v6
	v_mul_lo_u32 v5, v4, s68
	v_add_u32_e32 v7, 1, v4
	v_sub_u32_e32 v3, v3, v5
	v_cmp_le_u32_e32 vcc, s68, v3
	v_subrev_u32_e32 v5, s68, v3
	v_cndmask_b32_e32 v4, v4, v7, vcc
	v_cndmask_b32_e32 v3, v3, v5, vcc
	v_add_u32_e32 v5, 1, v4
	v_cmp_le_u32_e32 vcc, s68, v3
	v_cndmask_b32_e32 v3, v4, v5, vcc
	v_xor_b32_e32 v3, v3, v6
	v_sub_u32_e32 v3, v3, v6
	v_sub_u32_e32 v4, 0, v3
	v_max_i32_e32 v4, v3, v4
	v_mul_hi_u32 v5, v4, v10
	v_ashrrev_i32_e32 v7, 31, v3
	v_xor_b32_e32 v7, s75, v7
	v_mul_lo_u32 v14, v3, s23
	v_mul_lo_u32 v6, v5, s71
	v_add_u32_e32 v13, 1, v5
	v_sub_u32_e32 v14, v2, v14
	v_sub_u32_e32 v4, v4, v6
	v_cmp_le_u32_e32 vcc, s71, v4
	v_subrev_u32_e32 v6, s71, v4
	v_cndmask_b32_e32 v5, v5, v13, vcc
	v_cndmask_b32_e32 v4, v4, v6, vcc
	v_add_u32_e32 v6, 1, v5
	v_cmp_le_u32_e32 vcc, s71, v4
	v_cndmask_b32_e32 v4, v5, v6, vcc
	v_xor_b32_e32 v4, v4, v7
	v_sub_u32_e32 v4, v4, v7
	v_sub_u32_e32 v5, 0, v4
	v_max_i32_e32 v5, v4, v5
	v_mul_hi_u32 v6, v5, v11
	v_ashrrev_i32_e32 v16, 31, v4
	v_xor_b32_e32 v16, s20, v16
	v_mul_lo_u32 v7, v2, s34
	v_mul_lo_u32 v13, v6, s16
	;; [unrolled: 1-line block ×3, first 2 shown]
	v_sub_u32_e32 v5, v5, v13
	v_add_u32_e32 v13, 1, v6
	v_cmp_le_u32_e32 vcc, s16, v5
	v_cndmask_b32_e32 v6, v6, v13, vcc
	v_subrev_u32_e32 v13, s16, v5
	v_cndmask_b32_e32 v5, v5, v13, vcc
	v_add_u32_e32 v13, 1, v6
	v_cmp_le_u32_e32 vcc, s16, v5
	v_cndmask_b32_e32 v5, v6, v13, vcc
	v_xor_b32_e32 v5, v5, v16
	v_sub_u32_e32 v16, v5, v16
	v_mul_lo_u32 v5, v16, s21
	v_sub_u32_e32 v13, v0, v7
	v_sub_u32_e32 v15, v3, v15
	s_andn2_b64 vcc, exec, s[44:45]
	v_sub_u32_e32 v2, v4, v5
	v_ashrrev_i32_e32 v3, 31, v2
	s_cbranch_vccnz .LBB8_14
; %bb.4:                                ;   in Loop: Header=BB8_3 Depth=1
	v_mul_lo_u32 v4, v13, s10
	s_mov_b32 s43, 0
	v_subrev_u32_e32 v17, s13, v4
	v_mul_lo_u32 v4, v14, s9
	v_subrev_u32_e32 v18, s12, v4
	v_mul_lo_u32 v4, v15, s8
	;; [unrolled: 2-line block ×3, first 2 shown]
	v_ashrrev_i32_e32 v5, 31, v4
	v_lshlrev_b64 v[4:5], 1, v[4:5]
	v_add_co_u32_e32 v6, vcc, s52, v4
	v_mov_b32_e32 v4, s53
	v_addc_co_u32_e32 v7, vcc, v4, v5, vcc
	v_sub_u32_e32 v5, 0, v2
	v_max_i32_e32 v5, v2, v5
	v_mul_hi_u32 v20, v5, v12
	v_xor_b32_e32 v4, s76, v3
	v_mul_lo_u32 v21, v20, s73
	v_sub_u32_e32 v5, v5, v21
	v_cmp_le_u32_e32 vcc, s73, v5
	v_add_u32_e32 v21, 1, v20
	v_cndmask_b32_e32 v20, v20, v21, vcc
	v_subrev_u32_e32 v21, s73, v5
	v_cndmask_b32_e32 v5, v5, v21, vcc
	v_cmp_le_u32_e32 vcc, s73, v5
	v_add_u32_e32 v5, 1, v20
	v_cndmask_b32_e32 v5, v20, v5, vcc
	v_xor_b32_e32 v5, v5, v4
	v_sub_u32_e32 v4, v5, v4
	v_mul_lo_u32 v4, s29, v4
	s_waitcnt lgkmcnt(0)
	v_mov_b32_e32 v20, s61
	v_ashrrev_i32_e32 v5, 31, v4
	v_lshlrev_b64 v[4:5], 1, v[4:5]
	v_add_co_u32_e32 v6, vcc, v6, v4
	v_mul_lo_u32 v4, s30, v19
	v_addc_co_u32_e32 v7, vcc, v7, v5, vcc
	v_ashrrev_i32_e32 v5, 31, v4
	v_lshlrev_b64 v[4:5], 1, v[4:5]
	v_add_co_u32_e32 v6, vcc, v6, v4
	v_mul_lo_u32 v4, s31, v18
	v_addc_co_u32_e32 v7, vcc, v7, v5, vcc
	;; [unrolled: 5-line block ×4, first 2 shown]
	v_ashrrev_i32_e32 v7, 31, v6
	v_lshlrev_b64 v[6:7], 1, v[6:7]
	v_add_co_u32_e32 v6, vcc, s60, v6
	v_addc_co_u32_e32 v7, vcc, v20, v7, vcc
	v_mov_b32_e32 v20, 0
	s_branch .LBB8_6
.LBB8_5:                                ;   in Loop: Header=BB8_6 Depth=2
	v_mov_b32_e32 v21, s59
	s_add_i32 s43, s43, 1
	v_add_co_u32_e32 v4, vcc, s58, v4
	s_cmp_eq_u32 s43, s24
	v_addc_co_u32_e32 v5, vcc, v5, v21, vcc
	s_cbranch_scc1 .LBB8_15
.LBB8_6:                                ;   Parent Loop BB8_3 Depth=1
                                        ; =>  This Loop Header: Depth=2
                                        ;       Child Loop BB8_9 Depth 3
                                        ;         Child Loop BB8_12 Depth 4
	s_andn2_b64 vcc, exec, s[46:47]
	s_cbranch_vccnz .LBB8_5
; %bb.7:                                ;   in Loop: Header=BB8_6 Depth=2
	s_mul_i32 s0, s43, s14
	v_add_u32_e32 v21, s0, v19
	v_cmp_lt_i32_e64 s[0:1], -1, v21
	v_cmp_gt_i32_e64 s[2:3], s17, v21
	s_mov_b32 s77, 0
	s_branch .LBB8_9
.LBB8_8:                                ;   in Loop: Header=BB8_9 Depth=3
	v_mov_b32_e32 v21, s57
	s_add_i32 s77, s77, 1
	v_add_co_u32_e32 v4, vcc, s56, v4
	s_cmp_eq_u32 s77, s25
	v_addc_co_u32_e32 v5, vcc, v5, v21, vcc
	s_cbranch_scc1 .LBB8_5
.LBB8_9:                                ;   Parent Loop BB8_3 Depth=1
                                        ;     Parent Loop BB8_6 Depth=2
                                        ; =>    This Loop Header: Depth=3
                                        ;         Child Loop BB8_12 Depth 4
	s_andn2_b64 vcc, exec, s[48:49]
	s_cbranch_vccnz .LBB8_8
; %bb.10:                               ;   in Loop: Header=BB8_9 Depth=3
	s_mul_i32 s4, s77, s15
	v_add_u32_e32 v21, s4, v18
	v_cmp_lt_i32_e32 vcc, -1, v21
	s_and_b64 s[66:67], s[0:1], vcc
	v_cmp_gt_i32_e32 vcc, s18, v21
	v_mov_b32_e32 v21, v17
	s_mov_b32 s78, s26
	s_branch .LBB8_12
.LBB8_11:                               ;   in Loop: Header=BB8_12 Depth=4
	s_or_b64 exec, exec, s[4:5]
	v_add_co_u32_e64 v6, s[4:5], 2, v6
	v_addc_co_u32_e64 v7, s[4:5], 0, v7, s[4:5]
	s_add_i32 s78, s78, -1
	v_mov_b32_e32 v22, s65
	v_add_co_u32_e64 v4, s[4:5], s64, v4
	v_add_u32_e32 v21, s42, v21
	s_cmp_eq_u32 s78, 0
	v_addc_co_u32_e64 v5, s[4:5], v5, v22, s[4:5]
	s_cbranch_scc1 .LBB8_8
.LBB8_12:                               ;   Parent Loop BB8_3 Depth=1
                                        ;     Parent Loop BB8_6 Depth=2
                                        ;       Parent Loop BB8_9 Depth=3
                                        ; =>      This Inner Loop Header: Depth=4
	v_cmp_lt_i32_e64 s[4:5], -1, v21
	s_and_b64 s[4:5], s[66:67], s[4:5]
	s_and_b64 s[4:5], s[4:5], s[2:3]
	s_and_b64 s[80:81], s[4:5], vcc
	v_cmp_gt_i32_e64 s[4:5], s19, v21
	s_and_b64 s[80:81], s[80:81], s[4:5]
	s_and_saveexec_b64 s[4:5], s[80:81]
	s_cbranch_execz .LBB8_11
; %bb.13:                               ;   in Loop: Header=BB8_12 Depth=4
	global_load_ushort v22, v[6:7], off
	global_load_ushort v23, v[4:5], off
	s_waitcnt vmcnt(0)
	v_fma_mix_f32 v20, v22, v23, v20 op_sel_hi:[1,1,0]
	s_branch .LBB8_11
.LBB8_14:                               ;   in Loop: Header=BB8_3 Depth=1
	v_mov_b32_e32 v20, 0
.LBB8_15:                               ;   in Loop: Header=BB8_3 Depth=1
	s_and_b64 vcc, exec, s[50:51]
	s_cbranch_vccz .LBB8_2
; %bb.16:                               ;   in Loop: Header=BB8_3 Depth=1
	v_lshlrev_b64 v[3:4], 1, v[2:3]
	v_mov_b32_e32 v5, s41
	v_add_co_u32_e32 v3, vcc, s40, v3
	v_addc_co_u32_e32 v4, vcc, v5, v4, vcc
	global_load_ushort v3, v[3:4], off
	s_waitcnt vmcnt(0)
	v_cvt_f32_f16_e32 v3, v3
	v_add_f32_e32 v20, v20, v3
	s_branch .LBB8_2
.LBB8_17:
	s_endpgm
	.section	.rodata,"a",@progbits
	.p2align	6, 0x0
	.amdhsa_kernel _ZN2at6native12_GLOBAL__N_128conv_depthwise3d_cuda_kernelIN3c104HalfEfLin1ELin1ELin1ELin1ELin1ELin1EEEvN5torch10headeronly6detail27GenericPackedTensorAccessorINS7_14TensorAccessorINS3_8ArrayRefIlEEKT_Lm4ENS6_16DefaultPtrTraitsEiEENS_6detail16IndexBoundsCheckILm5EiEESD_Lm5ESE_iEENS8_INS9_ISB_SC_Lm4ESE_iEESI_SC_Lm5ESE_iEESJ_PSD_iiiiiiiii
		.amdhsa_group_segment_fixed_size 0
		.amdhsa_private_segment_fixed_size 0
		.amdhsa_kernarg_size 448
		.amdhsa_user_sgpr_count 6
		.amdhsa_user_sgpr_private_segment_buffer 1
		.amdhsa_user_sgpr_dispatch_ptr 0
		.amdhsa_user_sgpr_queue_ptr 0
		.amdhsa_user_sgpr_kernarg_segment_ptr 1
		.amdhsa_user_sgpr_dispatch_id 0
		.amdhsa_user_sgpr_flat_scratch_init 0
		.amdhsa_user_sgpr_private_segment_size 0
		.amdhsa_uses_dynamic_stack 0
		.amdhsa_system_sgpr_private_segment_wavefront_offset 0
		.amdhsa_system_sgpr_workgroup_id_x 1
		.amdhsa_system_sgpr_workgroup_id_y 0
		.amdhsa_system_sgpr_workgroup_id_z 0
		.amdhsa_system_sgpr_workgroup_info 0
		.amdhsa_system_vgpr_workitem_id 0
		.amdhsa_next_free_vgpr 24
		.amdhsa_next_free_sgpr 82
		.amdhsa_reserve_vcc 1
		.amdhsa_reserve_flat_scratch 0
		.amdhsa_float_round_mode_32 0
		.amdhsa_float_round_mode_16_64 0
		.amdhsa_float_denorm_mode_32 3
		.amdhsa_float_denorm_mode_16_64 3
		.amdhsa_dx10_clamp 1
		.amdhsa_ieee_mode 1
		.amdhsa_fp16_overflow 0
		.amdhsa_exception_fp_ieee_invalid_op 0
		.amdhsa_exception_fp_denorm_src 0
		.amdhsa_exception_fp_ieee_div_zero 0
		.amdhsa_exception_fp_ieee_overflow 0
		.amdhsa_exception_fp_ieee_underflow 0
		.amdhsa_exception_fp_ieee_inexact 0
		.amdhsa_exception_int_div_zero 0
	.end_amdhsa_kernel
	.section	.text._ZN2at6native12_GLOBAL__N_128conv_depthwise3d_cuda_kernelIN3c104HalfEfLin1ELin1ELin1ELin1ELin1ELin1EEEvN5torch10headeronly6detail27GenericPackedTensorAccessorINS7_14TensorAccessorINS3_8ArrayRefIlEEKT_Lm4ENS6_16DefaultPtrTraitsEiEENS_6detail16IndexBoundsCheckILm5EiEESD_Lm5ESE_iEENS8_INS9_ISB_SC_Lm4ESE_iEESI_SC_Lm5ESE_iEESJ_PSD_iiiiiiiii,"axG",@progbits,_ZN2at6native12_GLOBAL__N_128conv_depthwise3d_cuda_kernelIN3c104HalfEfLin1ELin1ELin1ELin1ELin1ELin1EEEvN5torch10headeronly6detail27GenericPackedTensorAccessorINS7_14TensorAccessorINS3_8ArrayRefIlEEKT_Lm4ENS6_16DefaultPtrTraitsEiEENS_6detail16IndexBoundsCheckILm5EiEESD_Lm5ESE_iEENS8_INS9_ISB_SC_Lm4ESE_iEESI_SC_Lm5ESE_iEESJ_PSD_iiiiiiiii,comdat
.Lfunc_end8:
	.size	_ZN2at6native12_GLOBAL__N_128conv_depthwise3d_cuda_kernelIN3c104HalfEfLin1ELin1ELin1ELin1ELin1ELin1EEEvN5torch10headeronly6detail27GenericPackedTensorAccessorINS7_14TensorAccessorINS3_8ArrayRefIlEEKT_Lm4ENS6_16DefaultPtrTraitsEiEENS_6detail16IndexBoundsCheckILm5EiEESD_Lm5ESE_iEENS8_INS9_ISB_SC_Lm4ESE_iEESI_SC_Lm5ESE_iEESJ_PSD_iiiiiiiii, .Lfunc_end8-_ZN2at6native12_GLOBAL__N_128conv_depthwise3d_cuda_kernelIN3c104HalfEfLin1ELin1ELin1ELin1ELin1ELin1EEEvN5torch10headeronly6detail27GenericPackedTensorAccessorINS7_14TensorAccessorINS3_8ArrayRefIlEEKT_Lm4ENS6_16DefaultPtrTraitsEiEENS_6detail16IndexBoundsCheckILm5EiEESD_Lm5ESE_iEENS8_INS9_ISB_SC_Lm4ESE_iEESI_SC_Lm5ESE_iEESJ_PSD_iiiiiiiii
                                        ; -- End function
	.set _ZN2at6native12_GLOBAL__N_128conv_depthwise3d_cuda_kernelIN3c104HalfEfLin1ELin1ELin1ELin1ELin1ELin1EEEvN5torch10headeronly6detail27GenericPackedTensorAccessorINS7_14TensorAccessorINS3_8ArrayRefIlEEKT_Lm4ENS6_16DefaultPtrTraitsEiEENS_6detail16IndexBoundsCheckILm5EiEESD_Lm5ESE_iEENS8_INS9_ISB_SC_Lm4ESE_iEESI_SC_Lm5ESE_iEESJ_PSD_iiiiiiiii.num_vgpr, 24
	.set _ZN2at6native12_GLOBAL__N_128conv_depthwise3d_cuda_kernelIN3c104HalfEfLin1ELin1ELin1ELin1ELin1ELin1EEEvN5torch10headeronly6detail27GenericPackedTensorAccessorINS7_14TensorAccessorINS3_8ArrayRefIlEEKT_Lm4ENS6_16DefaultPtrTraitsEiEENS_6detail16IndexBoundsCheckILm5EiEESD_Lm5ESE_iEENS8_INS9_ISB_SC_Lm4ESE_iEESI_SC_Lm5ESE_iEESJ_PSD_iiiiiiiii.num_agpr, 0
	.set _ZN2at6native12_GLOBAL__N_128conv_depthwise3d_cuda_kernelIN3c104HalfEfLin1ELin1ELin1ELin1ELin1ELin1EEEvN5torch10headeronly6detail27GenericPackedTensorAccessorINS7_14TensorAccessorINS3_8ArrayRefIlEEKT_Lm4ENS6_16DefaultPtrTraitsEiEENS_6detail16IndexBoundsCheckILm5EiEESD_Lm5ESE_iEENS8_INS9_ISB_SC_Lm4ESE_iEESI_SC_Lm5ESE_iEESJ_PSD_iiiiiiiii.numbered_sgpr, 82
	.set _ZN2at6native12_GLOBAL__N_128conv_depthwise3d_cuda_kernelIN3c104HalfEfLin1ELin1ELin1ELin1ELin1ELin1EEEvN5torch10headeronly6detail27GenericPackedTensorAccessorINS7_14TensorAccessorINS3_8ArrayRefIlEEKT_Lm4ENS6_16DefaultPtrTraitsEiEENS_6detail16IndexBoundsCheckILm5EiEESD_Lm5ESE_iEENS8_INS9_ISB_SC_Lm4ESE_iEESI_SC_Lm5ESE_iEESJ_PSD_iiiiiiiii.num_named_barrier, 0
	.set _ZN2at6native12_GLOBAL__N_128conv_depthwise3d_cuda_kernelIN3c104HalfEfLin1ELin1ELin1ELin1ELin1ELin1EEEvN5torch10headeronly6detail27GenericPackedTensorAccessorINS7_14TensorAccessorINS3_8ArrayRefIlEEKT_Lm4ENS6_16DefaultPtrTraitsEiEENS_6detail16IndexBoundsCheckILm5EiEESD_Lm5ESE_iEENS8_INS9_ISB_SC_Lm4ESE_iEESI_SC_Lm5ESE_iEESJ_PSD_iiiiiiiii.private_seg_size, 0
	.set _ZN2at6native12_GLOBAL__N_128conv_depthwise3d_cuda_kernelIN3c104HalfEfLin1ELin1ELin1ELin1ELin1ELin1EEEvN5torch10headeronly6detail27GenericPackedTensorAccessorINS7_14TensorAccessorINS3_8ArrayRefIlEEKT_Lm4ENS6_16DefaultPtrTraitsEiEENS_6detail16IndexBoundsCheckILm5EiEESD_Lm5ESE_iEENS8_INS9_ISB_SC_Lm4ESE_iEESI_SC_Lm5ESE_iEESJ_PSD_iiiiiiiii.uses_vcc, 1
	.set _ZN2at6native12_GLOBAL__N_128conv_depthwise3d_cuda_kernelIN3c104HalfEfLin1ELin1ELin1ELin1ELin1ELin1EEEvN5torch10headeronly6detail27GenericPackedTensorAccessorINS7_14TensorAccessorINS3_8ArrayRefIlEEKT_Lm4ENS6_16DefaultPtrTraitsEiEENS_6detail16IndexBoundsCheckILm5EiEESD_Lm5ESE_iEENS8_INS9_ISB_SC_Lm4ESE_iEESI_SC_Lm5ESE_iEESJ_PSD_iiiiiiiii.uses_flat_scratch, 0
	.set _ZN2at6native12_GLOBAL__N_128conv_depthwise3d_cuda_kernelIN3c104HalfEfLin1ELin1ELin1ELin1ELin1ELin1EEEvN5torch10headeronly6detail27GenericPackedTensorAccessorINS7_14TensorAccessorINS3_8ArrayRefIlEEKT_Lm4ENS6_16DefaultPtrTraitsEiEENS_6detail16IndexBoundsCheckILm5EiEESD_Lm5ESE_iEENS8_INS9_ISB_SC_Lm4ESE_iEESI_SC_Lm5ESE_iEESJ_PSD_iiiiiiiii.has_dyn_sized_stack, 0
	.set _ZN2at6native12_GLOBAL__N_128conv_depthwise3d_cuda_kernelIN3c104HalfEfLin1ELin1ELin1ELin1ELin1ELin1EEEvN5torch10headeronly6detail27GenericPackedTensorAccessorINS7_14TensorAccessorINS3_8ArrayRefIlEEKT_Lm4ENS6_16DefaultPtrTraitsEiEENS_6detail16IndexBoundsCheckILm5EiEESD_Lm5ESE_iEENS8_INS9_ISB_SC_Lm4ESE_iEESI_SC_Lm5ESE_iEESJ_PSD_iiiiiiiii.has_recursion, 0
	.set _ZN2at6native12_GLOBAL__N_128conv_depthwise3d_cuda_kernelIN3c104HalfEfLin1ELin1ELin1ELin1ELin1ELin1EEEvN5torch10headeronly6detail27GenericPackedTensorAccessorINS7_14TensorAccessorINS3_8ArrayRefIlEEKT_Lm4ENS6_16DefaultPtrTraitsEiEENS_6detail16IndexBoundsCheckILm5EiEESD_Lm5ESE_iEENS8_INS9_ISB_SC_Lm4ESE_iEESI_SC_Lm5ESE_iEESJ_PSD_iiiiiiiii.has_indirect_call, 0
	.section	.AMDGPU.csdata,"",@progbits
; Kernel info:
; codeLenInByte = 1832
; TotalNumSgprs: 86
; NumVgprs: 24
; ScratchSize: 0
; MemoryBound: 0
; FloatMode: 240
; IeeeMode: 1
; LDSByteSize: 0 bytes/workgroup (compile time only)
; SGPRBlocks: 10
; VGPRBlocks: 5
; NumSGPRsForWavesPerEU: 86
; NumVGPRsForWavesPerEU: 24
; Occupancy: 9
; WaveLimiterHint : 0
; COMPUTE_PGM_RSRC2:SCRATCH_EN: 0
; COMPUTE_PGM_RSRC2:USER_SGPR: 6
; COMPUTE_PGM_RSRC2:TRAP_HANDLER: 0
; COMPUTE_PGM_RSRC2:TGID_X_EN: 1
; COMPUTE_PGM_RSRC2:TGID_Y_EN: 0
; COMPUTE_PGM_RSRC2:TGID_Z_EN: 0
; COMPUTE_PGM_RSRC2:TIDIG_COMP_CNT: 0
	.section	.text._ZN2at6native12_GLOBAL__N_128conv_depthwise3d_cuda_kernelIN3c108BFloat16EfLi3ELi3ELi3ELi1ELi1ELi1EEEvN5torch10headeronly6detail27GenericPackedTensorAccessorINS7_14TensorAccessorINS3_8ArrayRefIlEEKT_Lm4ENS6_16DefaultPtrTraitsEiEENS_6detail16IndexBoundsCheckILm5EiEESD_Lm5ESE_iEENS8_INS9_ISB_SC_Lm4ESE_iEESI_SC_Lm5ESE_iEESJ_PSD_iiiiiiiii,"axG",@progbits,_ZN2at6native12_GLOBAL__N_128conv_depthwise3d_cuda_kernelIN3c108BFloat16EfLi3ELi3ELi3ELi1ELi1ELi1EEEvN5torch10headeronly6detail27GenericPackedTensorAccessorINS7_14TensorAccessorINS3_8ArrayRefIlEEKT_Lm4ENS6_16DefaultPtrTraitsEiEENS_6detail16IndexBoundsCheckILm5EiEESD_Lm5ESE_iEENS8_INS9_ISB_SC_Lm4ESE_iEESI_SC_Lm5ESE_iEESJ_PSD_iiiiiiiii,comdat
	.globl	_ZN2at6native12_GLOBAL__N_128conv_depthwise3d_cuda_kernelIN3c108BFloat16EfLi3ELi3ELi3ELi1ELi1ELi1EEEvN5torch10headeronly6detail27GenericPackedTensorAccessorINS7_14TensorAccessorINS3_8ArrayRefIlEEKT_Lm4ENS6_16DefaultPtrTraitsEiEENS_6detail16IndexBoundsCheckILm5EiEESD_Lm5ESE_iEENS8_INS9_ISB_SC_Lm4ESE_iEESI_SC_Lm5ESE_iEESJ_PSD_iiiiiiiii ; -- Begin function _ZN2at6native12_GLOBAL__N_128conv_depthwise3d_cuda_kernelIN3c108BFloat16EfLi3ELi3ELi3ELi1ELi1ELi1EEEvN5torch10headeronly6detail27GenericPackedTensorAccessorINS7_14TensorAccessorINS3_8ArrayRefIlEEKT_Lm4ENS6_16DefaultPtrTraitsEiEENS_6detail16IndexBoundsCheckILm5EiEESD_Lm5ESE_iEENS8_INS9_ISB_SC_Lm4ESE_iEESI_SC_Lm5ESE_iEESJ_PSD_iiiiiiiii
	.p2align	8
	.type	_ZN2at6native12_GLOBAL__N_128conv_depthwise3d_cuda_kernelIN3c108BFloat16EfLi3ELi3ELi3ELi1ELi1ELi1EEEvN5torch10headeronly6detail27GenericPackedTensorAccessorINS7_14TensorAccessorINS3_8ArrayRefIlEEKT_Lm4ENS6_16DefaultPtrTraitsEiEENS_6detail16IndexBoundsCheckILm5EiEESD_Lm5ESE_iEENS8_INS9_ISB_SC_Lm4ESE_iEESI_SC_Lm5ESE_iEESJ_PSD_iiiiiiiii,@function
_ZN2at6native12_GLOBAL__N_128conv_depthwise3d_cuda_kernelIN3c108BFloat16EfLi3ELi3ELi3ELi1ELi1ELi1EEEvN5torch10headeronly6detail27GenericPackedTensorAccessorINS7_14TensorAccessorINS3_8ArrayRefIlEEKT_Lm4ENS6_16DefaultPtrTraitsEiEENS_6detail16IndexBoundsCheckILm5EiEESD_Lm5ESE_iEENS8_INS9_ISB_SC_Lm4ESE_iEESI_SC_Lm5ESE_iEESJ_PSD_iiiiiiiii: ; @_ZN2at6native12_GLOBAL__N_128conv_depthwise3d_cuda_kernelIN3c108BFloat16EfLi3ELi3ELi3ELi1ELi1ELi1EEEvN5torch10headeronly6detail27GenericPackedTensorAccessorINS7_14TensorAccessorINS3_8ArrayRefIlEEKT_Lm4ENS6_16DefaultPtrTraitsEiEENS_6detail16IndexBoundsCheckILm5EiEESD_Lm5ESE_iEENS8_INS9_ISB_SC_Lm4ESE_iEESI_SC_Lm5ESE_iEESJ_PSD_iiiiiiiii
; %bb.0:
	s_load_dwordx4 s[28:31], s[4:5], 0xc
	s_load_dwordx4 s[36:39], s[4:5], 0x38
	s_load_dwordx2 s[34:35], s[4:5], 0x48
	s_load_dword s2, s[4:5], 0xcc
	v_mov_b32_e32 v7, 0
	s_waitcnt lgkmcnt(0)
	s_abs_i32 s3, s28
	v_cvt_f32_u32_e32 v1, s3
	s_add_u32 s0, s4, 0xc0
	s_addc_u32 s1, s5, 0
	s_and_b32 s2, s2, 0xffff
	v_rcp_iflag_f32_e32 v1, v1
	s_mul_i32 s52, s35, s36
	s_mul_hi_u32 s33, s2, s6
	s_mul_i32 s36, s2, s6
	v_mul_f32_e32 v1, 0x4f7ffffe, v1
	v_cvt_u32_f32_e32 v1, v1
	v_mov_b32_e32 v2, s33
	s_ashr_i32 s53, s52, 31
	v_readfirstlane_b32 s6, v1
	v_add_co_u32_e32 v1, vcc, s36, v0
	v_addc_co_u32_e32 v2, vcc, 0, v2, vcc
	v_cmp_gt_i64_e32 vcc, s[52:53], v[1:2]
	s_and_saveexec_b64 s[8:9], vcc
	s_cbranch_execz .LBB9_59
; %bb.1:
	s_sub_i32 s8, 0, s3
	s_mul_i32 s8, s8, s6
	s_mul_hi_u32 s8, s6, s8
	s_ashr_i32 s7, s28, 31
	s_abs_i32 s28, s37
	s_add_i32 s6, s6, s8
	s_mul_hi_u32 s6, s28, s6
	s_mul_i32 s8, s6, s3
	s_ashr_i32 s74, s37, 31
	s_sub_i32 s8, s28, s8
	s_xor_b32 s7, s74, s7
	s_add_i32 s9, s6, 1
	s_sub_i32 s10, s8, s3
	s_cmp_ge_u32 s8, s3
	s_cselect_b32 s6, s9, s6
	s_cselect_b32 s8, s10, s8
	s_add_i32 s9, s6, 1
	s_cmp_ge_u32 s8, s3
	s_cselect_b32 s3, s9, s6
	s_add_i32 s6, s30, -3
	s_xor_b32 s3, s3, s7
	s_mul_i32 s6, s31, s6
	s_load_dwordx4 s[40:43], s[4:5], 0x98
	s_load_dwordx2 s[54:55], s[4:5], 0xa8
	s_sub_i32 s3, s3, s7
	s_load_dword s8, s[0:1], 0x0
	s_load_dwordx2 s[56:57], s[4:5], 0x90
	s_load_dword s75, s[4:5], 0x7c
	s_load_dwordx2 s[58:59], s[4:5], 0x0
	s_load_dwordx4 s[44:47], s[4:5], 0x1c
	s_load_dword s76, s[4:5], 0x2c
	s_load_dwordx2 s[60:61], s[4:5], 0x30
	s_ashr_i32 s1, s31, 31
	s_ashr_i32 s7, s6, 31
	s_waitcnt lgkmcnt(0)
	s_cmp_lg_u64 s[56:57], 0
	s_cselect_b64 s[62:63], -1, 0
	s_abs_i32 s77, s34
	v_cvt_f32_u32_e32 v1, s77
	s_abs_i32 s78, s39
	v_cvt_f32_u32_e32 v2, s78
	s_mul_i32 s79, s8, s2
	v_rcp_iflag_f32_e32 v1, v1
	s_sub_i32 s2, 0, s77
	v_rcp_iflag_f32_e32 v2, v2
	s_abs_i32 s80, s38
	v_mul_f32_e32 v1, 0x4f7ffffe, v1
	v_cvt_u32_f32_e32 v1, v1
	v_mul_f32_e32 v2, 0x4f7ffffe, v2
	v_cvt_u32_f32_e32 v2, v2
	v_cvt_f32_u32_e32 v5, s80
	v_mul_lo_u32 v3, s2, v1
	s_sub_i32 s2, 0, s78
	v_mul_lo_u32 v4, s2, v2
	s_abs_i32 s83, s3
	v_mul_hi_u32 v3, v1, v3
	v_rcp_iflag_f32_e32 v5, v5
	v_mul_hi_u32 v4, v2, v4
	s_sub_i32 s2, 0, s80
	v_add_u32_e32 v8, v1, v3
	v_cvt_f32_u32_e32 v3, s83
	v_add_u32_e32 v9, v2, v4
	v_cvt_f32_u32_e32 v2, s28
	v_mul_f32_e32 v1, 0x4f7ffffe, v5
	v_rcp_iflag_f32_e32 v3, v3
	v_cvt_u32_f32_e32 v1, v1
	v_rcp_iflag_f32_e32 v2, v2
	s_load_dwordx2 s[66:67], s[4:5], 0x60
	s_load_dwordx4 s[48:51], s[4:5], 0x50
	v_mul_f32_e32 v3, 0x4f7ffffe, v3
	v_cvt_u32_f32_e32 v3, v3
	v_mul_f32_e32 v2, 0x4f7ffffe, v2
	v_cvt_u32_f32_e32 v2, v2
	v_mul_lo_u32 v4, s2, v1
	s_sub_i32 s2, 0, s28
	s_mov_b32 s0, s31
	v_mul_lo_u32 v5, s2, v2
	s_sub_i32 s2, 0, s83
	v_mul_lo_u32 v6, s2, v3
	v_mul_hi_u32 v4, v1, v4
	v_mul_hi_u32 v5, v2, v5
	s_mov_b64 s[64:65], 0
	v_mul_hi_u32 v6, v3, v6
	s_ashr_i32 s81, s34, 31
	s_ashr_i32 s82, s39, 31
	;; [unrolled: 1-line block ×3, first 2 shown]
	v_add_u32_e32 v10, v1, v4
	v_add_u32_e32 v11, v2, v5
	s_ashr_i32 s85, s3, 31
	v_add_u32_e32 v12, v3, v6
	s_waitcnt lgkmcnt(0)
	v_mov_b32_e32 v13, s67
	v_mov_b32_e32 v14, s59
	s_movk_i32 s59, 0x7fff
	s_lshl_b64 s[68:69], s[0:1], 1
	s_lshl_b64 s[70:71], s[6:7], 1
	v_mov_b32_e32 v15, 0x7fc0
	s_branch .LBB9_3
.LBB9_2:                                ;   in Loop: Header=BB9_3 Depth=1
	v_bfe_u32 v2, v20, 16, 1
	v_add3_u32 v3, v20, v2, s59
	v_mul_lo_u32 v2, v19, s35
	v_cmp_o_f32_e32 vcc, v20, v20
	v_cndmask_b32_sdwa v5, v15, v3, vcc dst_sel:DWORD dst_unused:UNUSED_PAD src0_sel:DWORD src1_sel:WORD_1
	v_mul_lo_u32 v1, s48, v1
	v_ashrrev_i32_e32 v3, 31, v2
	v_lshlrev_b64 v[2:3], 1, v[2:3]
	v_mov_b32_e32 v4, s61
	v_add_co_u32_e32 v6, vcc, s60, v2
	v_addc_co_u32_e32 v4, vcc, v4, v3, vcc
	v_ashrrev_i32_e32 v2, 31, v1
	v_mul_lo_u32 v3, s49, v18
	v_lshlrev_b64 v[1:2], 1, v[1:2]
	v_add_co_u32_e32 v6, vcc, v6, v1
	v_addc_co_u32_e32 v18, vcc, v4, v2, vcc
	v_ashrrev_i32_e32 v4, 31, v3
	v_lshlrev_b64 v[1:2], 1, v[3:4]
	v_mul_lo_u32 v3, s50, v17
	v_add_co_u32_e32 v6, vcc, v6, v1
	v_addc_co_u32_e32 v17, vcc, v18, v2, vcc
	v_ashrrev_i32_e32 v4, 31, v3
	v_lshlrev_b64 v[1:2], 1, v[3:4]
	v_mul_lo_u32 v3, s51, v16
	v_add_co_u32_e32 v6, vcc, v6, v1
	v_addc_co_u32_e32 v16, vcc, v17, v2, vcc
	v_add_co_u32_e32 v0, vcc, s79, v0
	v_ashrrev_i32_e32 v4, 31, v3
	v_addc_co_u32_e32 v7, vcc, 0, v7, vcc
	v_lshlrev_b64 v[1:2], 1, v[3:4]
	v_mov_b32_e32 v4, s33
	v_add_co_u32_e32 v3, vcc, s36, v0
	v_addc_co_u32_e32 v4, vcc, v4, v7, vcc
	v_cmp_le_i64_e32 vcc, s[52:53], v[3:4]
	v_add_co_u32_e64 v1, s[0:1], v6, v1
	v_addc_co_u32_e64 v2, s[0:1], v16, v2, s[0:1]
	s_or_b64 s[64:65], vcc, s[64:65]
	global_store_short v[1:2], v5, off
	s_andn2_b64 exec, exec, s[64:65]
	s_cbranch_execz .LBB9_59
.LBB9_3:                                ; =>This Inner Loop Header: Depth=1
	v_add_u32_e32 v2, s36, v0
	v_sub_u32_e32 v1, 0, v2
	v_max_i32_e32 v1, v2, v1
	v_mul_hi_u32 v3, v1, v8
	v_ashrrev_i32_e32 v5, 31, v2
	v_xor_b32_e32 v5, s81, v5
	v_mul_lo_u32 v4, v3, s77
	v_add_u32_e32 v6, 1, v3
	v_sub_u32_e32 v1, v1, v4
	v_cmp_le_u32_e32 vcc, s77, v1
	v_subrev_u32_e32 v4, s77, v1
	v_cndmask_b32_e32 v3, v3, v6, vcc
	v_cndmask_b32_e32 v1, v1, v4, vcc
	v_add_u32_e32 v4, 1, v3
	v_cmp_le_u32_e32 vcc, s77, v1
	v_cndmask_b32_e32 v1, v3, v4, vcc
	v_xor_b32_e32 v1, v1, v5
	v_sub_u32_e32 v3, v1, v5
	v_sub_u32_e32 v1, 0, v3
	v_max_i32_e32 v1, v3, v1
	v_mul_hi_u32 v4, v1, v9
	v_ashrrev_i32_e32 v6, 31, v3
	v_xor_b32_e32 v6, s82, v6
	v_mul_lo_u32 v5, v4, s78
	v_add_u32_e32 v16, 1, v4
	v_sub_u32_e32 v1, v1, v5
	v_cmp_le_u32_e32 vcc, s78, v1
	v_subrev_u32_e32 v5, s78, v1
	v_cndmask_b32_e32 v4, v4, v16, vcc
	v_cndmask_b32_e32 v1, v1, v5, vcc
	v_add_u32_e32 v5, 1, v4
	v_cmp_le_u32_e32 vcc, s78, v1
	v_cndmask_b32_e32 v1, v4, v5, vcc
	v_xor_b32_e32 v1, v1, v6
	v_sub_u32_e32 v4, v1, v6
	;; [unrolled: 17-line block ×4, first 2 shown]
	v_mul_lo_u32 v1, v19, s37
	v_mul_lo_u32 v17, v4, s39
	;; [unrolled: 1-line block ×3, first 2 shown]
	v_sub_u32_e32 v1, v5, v1
	v_sub_u32_e32 v16, 0, v1
	v_max_i32_e32 v20, v1, v16
	v_mul_hi_u32 v21, v20, v12
	v_sub_u32_e32 v17, v3, v17
	v_mul_lo_u32 v5, v5, s38
	v_sub_u32_e32 v16, v2, v6
	v_mul_lo_u32 v3, v21, s83
	v_ashrrev_i32_e32 v2, 31, v1
	v_sub_u32_e32 v18, v4, v5
	v_add_u32_e32 v5, 1, v21
	v_sub_u32_e32 v3, v20, v3
	v_cmp_le_u32_e32 vcc, s83, v3
	v_subrev_u32_e32 v6, s83, v3
	v_cndmask_b32_e32 v5, v21, v5, vcc
	v_cndmask_b32_e32 v3, v3, v6, vcc
	v_add_u32_e32 v6, 1, v5
	v_cmp_le_u32_e32 vcc, s83, v3
	v_xor_b32_e32 v4, s85, v2
	v_cndmask_b32_e32 v5, v5, v6, vcc
	v_mul_lo_u32 v3, s44, v19
	v_xor_b32_e32 v5, v5, v4
	v_sub_u32_e32 v5, v5, v4
	v_mul_lo_u32 v6, v18, s40
	v_mul_lo_u32 v5, s45, v5
	v_ashrrev_i32_e32 v4, 31, v3
	v_lshlrev_b64 v[3:4], 1, v[3:4]
	v_subrev_u32_e32 v21, s43, v6
	v_add_co_u32_e32 v20, vcc, s58, v3
	v_ashrrev_i32_e32 v6, 31, v5
	v_addc_co_u32_e32 v22, vcc, v14, v4, vcc
	v_mul_lo_u32 v23, v17, s41
	v_lshlrev_b64 v[3:4], 1, v[5:6]
	v_mul_lo_u32 v5, s46, v21
	v_add_co_u32_e32 v20, vcc, v20, v3
	v_addc_co_u32_e32 v24, vcc, v22, v4, vcc
	v_subrev_u32_e32 v22, s54, v23
	v_ashrrev_i32_e32 v6, 31, v5
	v_lshlrev_b64 v[3:4], 1, v[5:6]
	v_mul_lo_u32 v5, s47, v22
	v_mul_lo_u32 v23, v16, s42
	v_add_co_u32_e32 v20, vcc, v20, v3
	v_ashrrev_i32_e32 v6, 31, v5
	v_subrev_u32_e32 v23, s55, v23
	v_addc_co_u32_e32 v24, vcc, v24, v4, vcc
	v_lshlrev_b64 v[3:4], 1, v[5:6]
	v_mul_lo_u32 v5, s76, v23
	v_add_co_u32_e32 v20, vcc, v20, v3
	v_addc_co_u32_e32 v25, vcc, v24, v4, vcc
	v_ashrrev_i32_e32 v6, 31, v5
	v_mul_lo_u32 v24, s75, v1
	v_lshlrev_b64 v[3:4], 1, v[5:6]
	v_cmp_gt_i32_e64 s[22:23], s29, v21
	v_add_co_u32_e32 v5, vcc, v20, v3
	v_addc_co_u32_e32 v6, vcc, v25, v4, vcc
	v_ashrrev_i32_e32 v25, 31, v24
	v_or_b32_e32 v20, v21, v22
	v_lshlrev_b64 v[3:4], 1, v[24:25]
	v_cmp_lt_i32_e64 s[8:9], -1, v20
	v_or_b32_e32 v20, v20, v23
	v_cmp_lt_i32_e64 s[0:1], -1, v20
	v_add_co_u32_e32 v3, vcc, s66, v3
	v_cmp_gt_i32_e64 s[10:11], s30, v22
	s_and_b64 s[0:1], s[0:1], s[22:23]
	v_addc_co_u32_e32 v4, vcc, v13, v4, vcc
	s_and_b64 s[2:3], s[0:1], s[10:11]
	v_cmp_gt_i32_e64 s[0:1], s31, v23
	v_cmp_lt_i32_e64 s[14:15], -1, v21
	v_cmp_lt_i32_e64 s[16:17], -1, v22
	v_cmp_lt_i32_e32 vcc, -1, v23
	s_and_b64 s[4:5], s[2:3], s[0:1]
	v_mov_b32_e32 v20, 0
	s_and_saveexec_b64 s[2:3], s[4:5]
	s_cbranch_execz .LBB9_5
; %bb.4:                                ;   in Loop: Header=BB9_3 Depth=1
	global_load_ushort v20, v[5:6], off
	global_load_ushort v24, v[3:4], off
	s_waitcnt vmcnt(1)
	v_lshlrev_b32_e32 v20, 16, v20
	s_waitcnt vmcnt(0)
	v_lshlrev_b32_e32 v24, 16, v24
	v_fma_f32 v20, v24, v20, 0
.LBB9_5:                                ;   in Loop: Header=BB9_3 Depth=1
	s_or_b64 exec, exec, s[2:3]
	v_cmp_lt_i32_e64 s[2:3], -2, v23
	s_and_b64 s[4:5], s[8:9], s[2:3]
	v_add_u32_e32 v24, 1, v23
	s_and_b64 s[4:5], s[4:5], s[22:23]
	s_and_b64 s[6:7], s[4:5], s[10:11]
	v_cmp_gt_i32_e64 s[4:5], s31, v24
	s_and_b64 s[12:13], s[6:7], s[4:5]
	s_and_saveexec_b64 s[6:7], s[12:13]
	s_cbranch_execz .LBB9_7
; %bb.6:                                ;   in Loop: Header=BB9_3 Depth=1
	global_load_ushort v24, v[5:6], off offset:2
	global_load_ushort v25, v[3:4], off offset:2
	s_waitcnt vmcnt(1)
	v_lshlrev_b32_e32 v24, 16, v24
	s_waitcnt vmcnt(0)
	v_lshlrev_b32_e32 v25, 16, v25
	v_fmac_f32_e32 v20, v25, v24
.LBB9_7:                                ;   in Loop: Header=BB9_3 Depth=1
	s_or_b64 exec, exec, s[6:7]
	v_cmp_lt_i32_e64 s[6:7], -3, v23
	s_and_b64 s[8:9], s[8:9], s[6:7]
	v_add_u32_e32 v24, 2, v23
	s_and_b64 s[8:9], s[8:9], s[22:23]
	s_and_b64 s[12:13], s[8:9], s[10:11]
	v_cmp_gt_i32_e64 s[8:9], s31, v24
	s_and_b64 s[18:19], s[12:13], s[8:9]
	s_and_saveexec_b64 s[12:13], s[18:19]
	s_cbranch_execz .LBB9_9
; %bb.8:                                ;   in Loop: Header=BB9_3 Depth=1
	global_load_ushort v23, v[5:6], off offset:4
	global_load_ushort v24, v[3:4], off offset:4
	s_waitcnt vmcnt(1)
	v_lshlrev_b32_e32 v23, 16, v23
	s_waitcnt vmcnt(0)
	v_lshlrev_b32_e32 v24, 16, v24
	v_fmac_f32_e32 v20, v24, v23
.LBB9_9:                                ;   in Loop: Header=BB9_3 Depth=1
	s_or_b64 exec, exec, s[12:13]
	v_cmp_lt_i32_e64 s[18:19], -2, v22
	v_mov_b32_e32 v23, s69
	v_add_co_u32_e64 v5, s[12:13], s68, v5
	s_and_b64 s[20:21], s[14:15], s[18:19]
	v_addc_co_u32_e64 v6, s[12:13], v6, v23, s[12:13]
	v_add_u32_e32 v23, 1, v22
	s_and_b64 s[24:25], s[20:21], vcc
	v_cmp_gt_i32_e64 s[12:13], s30, v23
	s_and_b64 s[24:25], s[24:25], s[22:23]
	s_and_b64 s[24:25], s[24:25], s[12:13]
	;; [unrolled: 1-line block ×3, first 2 shown]
	s_and_saveexec_b64 s[24:25], s[26:27]
	s_cbranch_execz .LBB9_11
; %bb.10:                               ;   in Loop: Header=BB9_3 Depth=1
	global_load_ushort v23, v[5:6], off
	global_load_ushort v24, v[3:4], off offset:6
	s_waitcnt vmcnt(1)
	v_lshlrev_b32_e32 v23, 16, v23
	s_waitcnt vmcnt(0)
	v_lshlrev_b32_e32 v24, 16, v24
	v_fmac_f32_e32 v20, v24, v23
.LBB9_11:                               ;   in Loop: Header=BB9_3 Depth=1
	s_or_b64 exec, exec, s[24:25]
	s_and_b64 s[24:25], s[20:21], s[2:3]
	s_and_b64 s[24:25], s[24:25], s[22:23]
	;; [unrolled: 1-line block ×4, first 2 shown]
	s_and_saveexec_b64 s[24:25], s[26:27]
	s_cbranch_execz .LBB9_13
; %bb.12:                               ;   in Loop: Header=BB9_3 Depth=1
	global_load_ushort v23, v[5:6], off offset:2
	global_load_ushort v24, v[3:4], off offset:8
	s_waitcnt vmcnt(1)
	v_lshlrev_b32_e32 v23, 16, v23
	s_waitcnt vmcnt(0)
	v_lshlrev_b32_e32 v24, 16, v24
	v_fmac_f32_e32 v20, v24, v23
.LBB9_13:                               ;   in Loop: Header=BB9_3 Depth=1
	s_or_b64 exec, exec, s[24:25]
	s_and_b64 s[20:21], s[20:21], s[6:7]
	s_and_b64 s[20:21], s[20:21], s[22:23]
	;; [unrolled: 1-line block ×4, first 2 shown]
	s_and_saveexec_b64 s[20:21], s[24:25]
	s_cbranch_execz .LBB9_15
; %bb.14:                               ;   in Loop: Header=BB9_3 Depth=1
	global_load_ushort v23, v[5:6], off offset:4
	global_load_ushort v24, v[3:4], off offset:10
	s_waitcnt vmcnt(1)
	v_lshlrev_b32_e32 v23, 16, v23
	s_waitcnt vmcnt(0)
	v_lshlrev_b32_e32 v24, 16, v24
	v_fmac_f32_e32 v20, v24, v23
.LBB9_15:                               ;   in Loop: Header=BB9_3 Depth=1
	s_or_b64 exec, exec, s[20:21]
	v_mov_b32_e32 v23, s69
	v_add_co_u32_e64 v5, s[20:21], s68, v5
	v_addc_co_u32_e64 v6, s[20:21], v6, v23, s[20:21]
	v_cmp_lt_i32_e64 s[20:21], -3, v22
	s_and_b64 s[24:25], s[14:15], s[20:21]
	v_add_u32_e32 v23, 2, v22
	s_and_b64 s[26:27], s[24:25], vcc
	v_cmp_gt_i32_e64 s[14:15], s30, v23
	s_and_b64 s[26:27], s[26:27], s[22:23]
	s_and_b64 s[26:27], s[26:27], s[14:15]
	;; [unrolled: 1-line block ×3, first 2 shown]
	s_and_saveexec_b64 s[26:27], s[72:73]
	s_cbranch_execz .LBB9_17
; %bb.16:                               ;   in Loop: Header=BB9_3 Depth=1
	global_load_ushort v22, v[5:6], off
	global_load_ushort v23, v[3:4], off offset:12
	s_waitcnt vmcnt(1)
	v_lshlrev_b32_e32 v22, 16, v22
	s_waitcnt vmcnt(0)
	v_lshlrev_b32_e32 v23, 16, v23
	v_fmac_f32_e32 v20, v23, v22
.LBB9_17:                               ;   in Loop: Header=BB9_3 Depth=1
	s_or_b64 exec, exec, s[26:27]
	s_and_b64 s[26:27], s[24:25], s[2:3]
	s_and_b64 s[26:27], s[26:27], s[22:23]
	;; [unrolled: 1-line block ×4, first 2 shown]
	s_and_saveexec_b64 s[26:27], s[72:73]
	s_cbranch_execz .LBB9_19
; %bb.18:                               ;   in Loop: Header=BB9_3 Depth=1
	global_load_ushort v22, v[5:6], off offset:2
	global_load_ushort v23, v[3:4], off offset:14
	s_waitcnt vmcnt(1)
	v_lshlrev_b32_e32 v22, 16, v22
	s_waitcnt vmcnt(0)
	v_lshlrev_b32_e32 v23, 16, v23
	v_fmac_f32_e32 v20, v23, v22
.LBB9_19:                               ;   in Loop: Header=BB9_3 Depth=1
	s_or_b64 exec, exec, s[26:27]
	s_and_b64 s[24:25], s[24:25], s[6:7]
	s_and_b64 s[22:23], s[24:25], s[22:23]
	;; [unrolled: 1-line block ×4, first 2 shown]
	s_and_saveexec_b64 s[22:23], s[24:25]
	s_cbranch_execz .LBB9_21
; %bb.20:                               ;   in Loop: Header=BB9_3 Depth=1
	global_load_ushort v22, v[5:6], off offset:4
	global_load_ushort v23, v[3:4], off offset:16
	s_waitcnt vmcnt(1)
	v_lshlrev_b32_e32 v22, 16, v22
	s_waitcnt vmcnt(0)
	v_lshlrev_b32_e32 v23, 16, v23
	v_fmac_f32_e32 v20, v23, v22
.LBB9_21:                               ;   in Loop: Header=BB9_3 Depth=1
	s_or_b64 exec, exec, s[22:23]
	v_mov_b32_e32 v22, s69
	v_add_co_u32_e64 v5, s[22:23], s68, v5
	v_addc_co_u32_e64 v6, s[22:23], v6, v22, s[22:23]
	v_mov_b32_e32 v22, s71
	v_add_co_u32_e64 v5, s[22:23], s70, v5
	v_cmp_lt_i32_e64 s[24:25], -2, v21
	v_addc_co_u32_e64 v6, s[22:23], v6, v22, s[22:23]
	v_add_u32_e32 v22, 1, v21
	s_and_b64 s[26:27], s[24:25], s[16:17]
	v_cmp_gt_i32_e64 s[22:23], s29, v22
	s_and_b64 s[72:73], s[26:27], vcc
	s_and_b64 s[72:73], s[72:73], s[22:23]
	s_and_b64 s[72:73], s[72:73], s[10:11]
	;; [unrolled: 1-line block ×3, first 2 shown]
	s_and_saveexec_b64 s[72:73], s[86:87]
	s_cbranch_execz .LBB9_23
; %bb.22:                               ;   in Loop: Header=BB9_3 Depth=1
	global_load_ushort v22, v[5:6], off
	global_load_ushort v23, v[3:4], off offset:18
	s_waitcnt vmcnt(1)
	v_lshlrev_b32_e32 v22, 16, v22
	s_waitcnt vmcnt(0)
	v_lshlrev_b32_e32 v23, 16, v23
	v_fmac_f32_e32 v20, v23, v22
.LBB9_23:                               ;   in Loop: Header=BB9_3 Depth=1
	s_or_b64 exec, exec, s[72:73]
	s_and_b64 s[72:73], s[26:27], s[2:3]
	s_and_b64 s[72:73], s[72:73], s[22:23]
	;; [unrolled: 1-line block ×4, first 2 shown]
	s_and_saveexec_b64 s[72:73], s[86:87]
	s_cbranch_execz .LBB9_25
; %bb.24:                               ;   in Loop: Header=BB9_3 Depth=1
	global_load_ushort v22, v[5:6], off offset:2
	global_load_ushort v23, v[3:4], off offset:20
	s_waitcnt vmcnt(1)
	v_lshlrev_b32_e32 v22, 16, v22
	s_waitcnt vmcnt(0)
	v_lshlrev_b32_e32 v23, 16, v23
	v_fmac_f32_e32 v20, v23, v22
.LBB9_25:                               ;   in Loop: Header=BB9_3 Depth=1
	s_or_b64 exec, exec, s[72:73]
	s_and_b64 s[26:27], s[26:27], s[6:7]
	s_and_b64 s[26:27], s[26:27], s[22:23]
	;; [unrolled: 1-line block ×4, first 2 shown]
	s_and_saveexec_b64 s[26:27], s[72:73]
	s_cbranch_execz .LBB9_27
; %bb.26:                               ;   in Loop: Header=BB9_3 Depth=1
	global_load_ushort v22, v[5:6], off offset:4
	global_load_ushort v23, v[3:4], off offset:22
	s_waitcnt vmcnt(1)
	v_lshlrev_b32_e32 v22, 16, v22
	s_waitcnt vmcnt(0)
	v_lshlrev_b32_e32 v23, 16, v23
	v_fmac_f32_e32 v20, v23, v22
.LBB9_27:                               ;   in Loop: Header=BB9_3 Depth=1
	s_or_b64 exec, exec, s[26:27]
	v_mov_b32_e32 v22, s69
	v_add_co_u32_e64 v5, s[26:27], s68, v5
	v_addc_co_u32_e64 v6, s[26:27], v6, v22, s[26:27]
	s_and_b64 s[26:27], s[24:25], s[18:19]
	s_and_b64 s[72:73], s[26:27], vcc
	s_and_b64 s[72:73], s[72:73], s[22:23]
	s_and_b64 s[72:73], s[72:73], s[12:13]
	;; [unrolled: 1-line block ×3, first 2 shown]
	s_and_saveexec_b64 s[72:73], s[86:87]
	s_cbranch_execz .LBB9_29
; %bb.28:                               ;   in Loop: Header=BB9_3 Depth=1
	global_load_ushort v22, v[5:6], off
	global_load_ushort v23, v[3:4], off offset:24
	s_waitcnt vmcnt(1)
	v_lshlrev_b32_e32 v22, 16, v22
	s_waitcnt vmcnt(0)
	v_lshlrev_b32_e32 v23, 16, v23
	v_fmac_f32_e32 v20, v23, v22
.LBB9_29:                               ;   in Loop: Header=BB9_3 Depth=1
	s_or_b64 exec, exec, s[72:73]
	s_and_b64 s[72:73], s[26:27], s[2:3]
	s_and_b64 s[72:73], s[72:73], s[22:23]
	;; [unrolled: 1-line block ×4, first 2 shown]
	s_and_saveexec_b64 s[72:73], s[86:87]
	s_cbranch_execz .LBB9_31
; %bb.30:                               ;   in Loop: Header=BB9_3 Depth=1
	global_load_ushort v22, v[5:6], off offset:2
	global_load_ushort v23, v[3:4], off offset:26
	s_waitcnt vmcnt(1)
	v_lshlrev_b32_e32 v22, 16, v22
	s_waitcnt vmcnt(0)
	v_lshlrev_b32_e32 v23, 16, v23
	v_fmac_f32_e32 v20, v23, v22
.LBB9_31:                               ;   in Loop: Header=BB9_3 Depth=1
	s_or_b64 exec, exec, s[72:73]
	s_and_b64 s[26:27], s[26:27], s[6:7]
	s_and_b64 s[26:27], s[26:27], s[22:23]
	;; [unrolled: 1-line block ×4, first 2 shown]
	s_and_saveexec_b64 s[26:27], s[72:73]
	s_cbranch_execz .LBB9_33
; %bb.32:                               ;   in Loop: Header=BB9_3 Depth=1
	global_load_ushort v22, v[5:6], off offset:4
	global_load_ushort v23, v[3:4], off offset:28
	s_waitcnt vmcnt(1)
	v_lshlrev_b32_e32 v22, 16, v22
	s_waitcnt vmcnt(0)
	v_lshlrev_b32_e32 v23, 16, v23
	v_fmac_f32_e32 v20, v23, v22
.LBB9_33:                               ;   in Loop: Header=BB9_3 Depth=1
	s_or_b64 exec, exec, s[26:27]
	v_mov_b32_e32 v22, s69
	v_add_co_u32_e64 v5, s[26:27], s68, v5
	v_addc_co_u32_e64 v6, s[26:27], v6, v22, s[26:27]
	s_and_b64 s[24:25], s[24:25], s[20:21]
	s_and_b64 s[26:27], s[24:25], vcc
	s_and_b64 s[26:27], s[26:27], s[22:23]
	s_and_b64 s[26:27], s[26:27], s[14:15]
	;; [unrolled: 1-line block ×3, first 2 shown]
	s_and_saveexec_b64 s[26:27], s[72:73]
	s_cbranch_execz .LBB9_35
; %bb.34:                               ;   in Loop: Header=BB9_3 Depth=1
	global_load_ushort v22, v[5:6], off
	global_load_ushort v23, v[3:4], off offset:30
	s_waitcnt vmcnt(1)
	v_lshlrev_b32_e32 v22, 16, v22
	s_waitcnt vmcnt(0)
	v_lshlrev_b32_e32 v23, 16, v23
	v_fmac_f32_e32 v20, v23, v22
.LBB9_35:                               ;   in Loop: Header=BB9_3 Depth=1
	s_or_b64 exec, exec, s[26:27]
	s_and_b64 s[26:27], s[24:25], s[2:3]
	s_and_b64 s[26:27], s[26:27], s[22:23]
	;; [unrolled: 1-line block ×4, first 2 shown]
	s_and_saveexec_b64 s[26:27], s[72:73]
	s_cbranch_execz .LBB9_37
; %bb.36:                               ;   in Loop: Header=BB9_3 Depth=1
	global_load_ushort v22, v[5:6], off offset:2
	global_load_ushort v23, v[3:4], off offset:32
	s_waitcnt vmcnt(1)
	v_lshlrev_b32_e32 v22, 16, v22
	s_waitcnt vmcnt(0)
	v_lshlrev_b32_e32 v23, 16, v23
	v_fmac_f32_e32 v20, v23, v22
.LBB9_37:                               ;   in Loop: Header=BB9_3 Depth=1
	s_or_b64 exec, exec, s[26:27]
	s_and_b64 s[24:25], s[24:25], s[6:7]
	s_and_b64 s[22:23], s[24:25], s[22:23]
	;; [unrolled: 1-line block ×4, first 2 shown]
	s_and_saveexec_b64 s[22:23], s[24:25]
	s_cbranch_execz .LBB9_39
; %bb.38:                               ;   in Loop: Header=BB9_3 Depth=1
	global_load_ushort v22, v[5:6], off offset:4
	global_load_ushort v23, v[3:4], off offset:34
	s_waitcnt vmcnt(1)
	v_lshlrev_b32_e32 v22, 16, v22
	s_waitcnt vmcnt(0)
	v_lshlrev_b32_e32 v23, 16, v23
	v_fmac_f32_e32 v20, v23, v22
.LBB9_39:                               ;   in Loop: Header=BB9_3 Depth=1
	s_or_b64 exec, exec, s[22:23]
	v_mov_b32_e32 v22, s69
	v_add_co_u32_e64 v5, s[22:23], s68, v5
	v_addc_co_u32_e64 v6, s[22:23], v6, v22, s[22:23]
	v_mov_b32_e32 v22, s71
	v_add_co_u32_e64 v5, s[22:23], s70, v5
	v_cmp_lt_i32_e64 s[24:25], -3, v21
	v_addc_co_u32_e64 v6, s[22:23], v6, v22, s[22:23]
	v_add_u32_e32 v22, 2, v21
	s_and_b64 s[16:17], s[24:25], s[16:17]
	v_cmp_gt_i32_e64 s[22:23], s29, v22
	s_and_b64 s[26:27], s[16:17], vcc
	s_and_b64 s[26:27], s[26:27], s[22:23]
	s_and_b64 s[26:27], s[26:27], s[10:11]
	s_and_b64 s[72:73], s[26:27], s[0:1]
	s_and_saveexec_b64 s[26:27], s[72:73]
	s_cbranch_execz .LBB9_41
; %bb.40:                               ;   in Loop: Header=BB9_3 Depth=1
	global_load_ushort v21, v[5:6], off
	global_load_ushort v22, v[3:4], off offset:36
	s_waitcnt vmcnt(1)
	v_lshlrev_b32_e32 v21, 16, v21
	s_waitcnt vmcnt(0)
	v_lshlrev_b32_e32 v22, 16, v22
	v_fmac_f32_e32 v20, v22, v21
.LBB9_41:                               ;   in Loop: Header=BB9_3 Depth=1
	s_or_b64 exec, exec, s[26:27]
	s_and_b64 s[26:27], s[16:17], s[2:3]
	s_and_b64 s[26:27], s[26:27], s[22:23]
	;; [unrolled: 1-line block ×4, first 2 shown]
	s_and_saveexec_b64 s[26:27], s[72:73]
	s_cbranch_execz .LBB9_43
; %bb.42:                               ;   in Loop: Header=BB9_3 Depth=1
	global_load_ushort v21, v[5:6], off offset:2
	global_load_ushort v22, v[3:4], off offset:38
	s_waitcnt vmcnt(1)
	v_lshlrev_b32_e32 v21, 16, v21
	s_waitcnt vmcnt(0)
	v_lshlrev_b32_e32 v22, 16, v22
	v_fmac_f32_e32 v20, v22, v21
.LBB9_43:                               ;   in Loop: Header=BB9_3 Depth=1
	s_or_b64 exec, exec, s[26:27]
	s_and_b64 s[16:17], s[16:17], s[6:7]
	s_and_b64 s[16:17], s[16:17], s[22:23]
	s_and_b64 s[10:11], s[16:17], s[10:11]
	s_and_b64 s[16:17], s[10:11], s[8:9]
	s_and_saveexec_b64 s[10:11], s[16:17]
	s_cbranch_execz .LBB9_45
; %bb.44:                               ;   in Loop: Header=BB9_3 Depth=1
	global_load_ushort v21, v[5:6], off offset:4
	global_load_ushort v22, v[3:4], off offset:40
	s_waitcnt vmcnt(1)
	v_lshlrev_b32_e32 v21, 16, v21
	s_waitcnt vmcnt(0)
	v_lshlrev_b32_e32 v22, 16, v22
	v_fmac_f32_e32 v20, v22, v21
.LBB9_45:                               ;   in Loop: Header=BB9_3 Depth=1
	s_or_b64 exec, exec, s[10:11]
	v_mov_b32_e32 v21, s69
	v_add_co_u32_e64 v5, s[10:11], s68, v5
	v_addc_co_u32_e64 v6, s[10:11], v6, v21, s[10:11]
	s_and_b64 s[10:11], s[24:25], s[18:19]
	s_and_b64 s[16:17], s[10:11], vcc
	s_and_b64 s[16:17], s[16:17], s[22:23]
	s_and_b64 s[16:17], s[16:17], s[12:13]
	s_and_b64 s[18:19], s[16:17], s[0:1]
	s_and_saveexec_b64 s[16:17], s[18:19]
	s_cbranch_execz .LBB9_47
; %bb.46:                               ;   in Loop: Header=BB9_3 Depth=1
	global_load_ushort v21, v[5:6], off
	global_load_ushort v22, v[3:4], off offset:42
	s_waitcnt vmcnt(1)
	v_lshlrev_b32_e32 v21, 16, v21
	s_waitcnt vmcnt(0)
	v_lshlrev_b32_e32 v22, 16, v22
	v_fmac_f32_e32 v20, v22, v21
.LBB9_47:                               ;   in Loop: Header=BB9_3 Depth=1
	s_or_b64 exec, exec, s[16:17]
	s_and_b64 s[16:17], s[10:11], s[2:3]
	s_and_b64 s[16:17], s[16:17], s[22:23]
	;; [unrolled: 1-line block ×4, first 2 shown]
	s_and_saveexec_b64 s[16:17], s[18:19]
	s_cbranch_execz .LBB9_49
; %bb.48:                               ;   in Loop: Header=BB9_3 Depth=1
	global_load_ushort v21, v[5:6], off offset:2
	global_load_ushort v22, v[3:4], off offset:44
	s_waitcnt vmcnt(1)
	v_lshlrev_b32_e32 v21, 16, v21
	s_waitcnt vmcnt(0)
	v_lshlrev_b32_e32 v22, 16, v22
	v_fmac_f32_e32 v20, v22, v21
.LBB9_49:                               ;   in Loop: Header=BB9_3 Depth=1
	s_or_b64 exec, exec, s[16:17]
	s_and_b64 s[10:11], s[10:11], s[6:7]
	s_and_b64 s[10:11], s[10:11], s[22:23]
	;; [unrolled: 1-line block ×4, first 2 shown]
	s_and_saveexec_b64 s[10:11], s[12:13]
	s_cbranch_execz .LBB9_51
; %bb.50:                               ;   in Loop: Header=BB9_3 Depth=1
	global_load_ushort v21, v[5:6], off offset:4
	global_load_ushort v22, v[3:4], off offset:46
	s_waitcnt vmcnt(1)
	v_lshlrev_b32_e32 v21, 16, v21
	s_waitcnt vmcnt(0)
	v_lshlrev_b32_e32 v22, 16, v22
	v_fmac_f32_e32 v20, v22, v21
.LBB9_51:                               ;   in Loop: Header=BB9_3 Depth=1
	s_or_b64 exec, exec, s[10:11]
	v_mov_b32_e32 v21, s69
	v_add_co_u32_e64 v5, s[10:11], s68, v5
	v_addc_co_u32_e64 v6, s[10:11], v6, v21, s[10:11]
	s_and_b64 s[10:11], s[24:25], s[20:21]
	s_and_b64 s[12:13], s[10:11], vcc
	s_and_b64 s[12:13], s[12:13], s[22:23]
	s_and_b64 s[12:13], s[12:13], s[14:15]
	;; [unrolled: 1-line block ×3, first 2 shown]
	s_and_saveexec_b64 s[0:1], s[12:13]
	s_cbranch_execz .LBB9_53
; %bb.52:                               ;   in Loop: Header=BB9_3 Depth=1
	global_load_ushort v21, v[5:6], off
	global_load_ushort v22, v[3:4], off offset:48
	s_waitcnt vmcnt(1)
	v_lshlrev_b32_e32 v21, 16, v21
	s_waitcnt vmcnt(0)
	v_lshlrev_b32_e32 v22, 16, v22
	v_fmac_f32_e32 v20, v22, v21
.LBB9_53:                               ;   in Loop: Header=BB9_3 Depth=1
	s_or_b64 exec, exec, s[0:1]
	s_and_b64 s[0:1], s[10:11], s[2:3]
	s_and_b64 s[0:1], s[0:1], s[22:23]
	;; [unrolled: 1-line block ×4, first 2 shown]
	s_and_saveexec_b64 s[0:1], s[2:3]
	s_cbranch_execz .LBB9_55
; %bb.54:                               ;   in Loop: Header=BB9_3 Depth=1
	global_load_ushort v21, v[5:6], off offset:2
	global_load_ushort v22, v[3:4], off offset:50
	s_waitcnt vmcnt(1)
	v_lshlrev_b32_e32 v21, 16, v21
	s_waitcnt vmcnt(0)
	v_lshlrev_b32_e32 v22, 16, v22
	v_fmac_f32_e32 v20, v22, v21
.LBB9_55:                               ;   in Loop: Header=BB9_3 Depth=1
	s_or_b64 exec, exec, s[0:1]
	s_and_b64 s[0:1], s[10:11], s[6:7]
	s_and_b64 s[0:1], s[0:1], s[22:23]
	s_and_b64 s[0:1], s[0:1], s[14:15]
	s_and_b64 s[2:3], s[0:1], s[8:9]
	s_and_saveexec_b64 s[0:1], s[2:3]
	s_cbranch_execz .LBB9_57
; %bb.56:                               ;   in Loop: Header=BB9_3 Depth=1
	global_load_ushort v5, v[5:6], off offset:4
	s_nop 0
	global_load_ushort v3, v[3:4], off offset:52
	s_waitcnt vmcnt(1)
	v_lshlrev_b32_e32 v4, 16, v5
	s_waitcnt vmcnt(0)
	v_lshlrev_b32_e32 v3, 16, v3
	v_fmac_f32_e32 v20, v3, v4
.LBB9_57:                               ;   in Loop: Header=BB9_3 Depth=1
	s_or_b64 exec, exec, s[0:1]
	s_andn2_b64 vcc, exec, s[62:63]
	s_cbranch_vccnz .LBB9_2
; %bb.58:                               ;   in Loop: Header=BB9_3 Depth=1
	v_lshlrev_b64 v[2:3], 1, v[1:2]
	v_mov_b32_e32 v4, s57
	v_add_co_u32_e32 v2, vcc, s56, v2
	v_addc_co_u32_e32 v3, vcc, v4, v3, vcc
	global_load_ushort v2, v[2:3], off
	s_waitcnt vmcnt(0)
	v_lshlrev_b32_e32 v2, 16, v2
	v_add_f32_e32 v20, v20, v2
	s_branch .LBB9_2
.LBB9_59:
	s_endpgm
	.section	.rodata,"a",@progbits
	.p2align	6, 0x0
	.amdhsa_kernel _ZN2at6native12_GLOBAL__N_128conv_depthwise3d_cuda_kernelIN3c108BFloat16EfLi3ELi3ELi3ELi1ELi1ELi1EEEvN5torch10headeronly6detail27GenericPackedTensorAccessorINS7_14TensorAccessorINS3_8ArrayRefIlEEKT_Lm4ENS6_16DefaultPtrTraitsEiEENS_6detail16IndexBoundsCheckILm5EiEESD_Lm5ESE_iEENS8_INS9_ISB_SC_Lm4ESE_iEESI_SC_Lm5ESE_iEESJ_PSD_iiiiiiiii
		.amdhsa_group_segment_fixed_size 0
		.amdhsa_private_segment_fixed_size 0
		.amdhsa_kernarg_size 448
		.amdhsa_user_sgpr_count 6
		.amdhsa_user_sgpr_private_segment_buffer 1
		.amdhsa_user_sgpr_dispatch_ptr 0
		.amdhsa_user_sgpr_queue_ptr 0
		.amdhsa_user_sgpr_kernarg_segment_ptr 1
		.amdhsa_user_sgpr_dispatch_id 0
		.amdhsa_user_sgpr_flat_scratch_init 0
		.amdhsa_user_sgpr_private_segment_size 0
		.amdhsa_uses_dynamic_stack 0
		.amdhsa_system_sgpr_private_segment_wavefront_offset 0
		.amdhsa_system_sgpr_workgroup_id_x 1
		.amdhsa_system_sgpr_workgroup_id_y 0
		.amdhsa_system_sgpr_workgroup_id_z 0
		.amdhsa_system_sgpr_workgroup_info 0
		.amdhsa_system_vgpr_workitem_id 0
		.amdhsa_next_free_vgpr 26
		.amdhsa_next_free_sgpr 88
		.amdhsa_reserve_vcc 1
		.amdhsa_reserve_flat_scratch 0
		.amdhsa_float_round_mode_32 0
		.amdhsa_float_round_mode_16_64 0
		.amdhsa_float_denorm_mode_32 3
		.amdhsa_float_denorm_mode_16_64 3
		.amdhsa_dx10_clamp 1
		.amdhsa_ieee_mode 1
		.amdhsa_fp16_overflow 0
		.amdhsa_exception_fp_ieee_invalid_op 0
		.amdhsa_exception_fp_denorm_src 0
		.amdhsa_exception_fp_ieee_div_zero 0
		.amdhsa_exception_fp_ieee_overflow 0
		.amdhsa_exception_fp_ieee_underflow 0
		.amdhsa_exception_fp_ieee_inexact 0
		.amdhsa_exception_int_div_zero 0
	.end_amdhsa_kernel
	.section	.text._ZN2at6native12_GLOBAL__N_128conv_depthwise3d_cuda_kernelIN3c108BFloat16EfLi3ELi3ELi3ELi1ELi1ELi1EEEvN5torch10headeronly6detail27GenericPackedTensorAccessorINS7_14TensorAccessorINS3_8ArrayRefIlEEKT_Lm4ENS6_16DefaultPtrTraitsEiEENS_6detail16IndexBoundsCheckILm5EiEESD_Lm5ESE_iEENS8_INS9_ISB_SC_Lm4ESE_iEESI_SC_Lm5ESE_iEESJ_PSD_iiiiiiiii,"axG",@progbits,_ZN2at6native12_GLOBAL__N_128conv_depthwise3d_cuda_kernelIN3c108BFloat16EfLi3ELi3ELi3ELi1ELi1ELi1EEEvN5torch10headeronly6detail27GenericPackedTensorAccessorINS7_14TensorAccessorINS3_8ArrayRefIlEEKT_Lm4ENS6_16DefaultPtrTraitsEiEENS_6detail16IndexBoundsCheckILm5EiEESD_Lm5ESE_iEENS8_INS9_ISB_SC_Lm4ESE_iEESI_SC_Lm5ESE_iEESJ_PSD_iiiiiiiii,comdat
.Lfunc_end9:
	.size	_ZN2at6native12_GLOBAL__N_128conv_depthwise3d_cuda_kernelIN3c108BFloat16EfLi3ELi3ELi3ELi1ELi1ELi1EEEvN5torch10headeronly6detail27GenericPackedTensorAccessorINS7_14TensorAccessorINS3_8ArrayRefIlEEKT_Lm4ENS6_16DefaultPtrTraitsEiEENS_6detail16IndexBoundsCheckILm5EiEESD_Lm5ESE_iEENS8_INS9_ISB_SC_Lm4ESE_iEESI_SC_Lm5ESE_iEESJ_PSD_iiiiiiiii, .Lfunc_end9-_ZN2at6native12_GLOBAL__N_128conv_depthwise3d_cuda_kernelIN3c108BFloat16EfLi3ELi3ELi3ELi1ELi1ELi1EEEvN5torch10headeronly6detail27GenericPackedTensorAccessorINS7_14TensorAccessorINS3_8ArrayRefIlEEKT_Lm4ENS6_16DefaultPtrTraitsEiEENS_6detail16IndexBoundsCheckILm5EiEESD_Lm5ESE_iEENS8_INS9_ISB_SC_Lm4ESE_iEESI_SC_Lm5ESE_iEESJ_PSD_iiiiiiiii
                                        ; -- End function
	.set _ZN2at6native12_GLOBAL__N_128conv_depthwise3d_cuda_kernelIN3c108BFloat16EfLi3ELi3ELi3ELi1ELi1ELi1EEEvN5torch10headeronly6detail27GenericPackedTensorAccessorINS7_14TensorAccessorINS3_8ArrayRefIlEEKT_Lm4ENS6_16DefaultPtrTraitsEiEENS_6detail16IndexBoundsCheckILm5EiEESD_Lm5ESE_iEENS8_INS9_ISB_SC_Lm4ESE_iEESI_SC_Lm5ESE_iEESJ_PSD_iiiiiiiii.num_vgpr, 26
	.set _ZN2at6native12_GLOBAL__N_128conv_depthwise3d_cuda_kernelIN3c108BFloat16EfLi3ELi3ELi3ELi1ELi1ELi1EEEvN5torch10headeronly6detail27GenericPackedTensorAccessorINS7_14TensorAccessorINS3_8ArrayRefIlEEKT_Lm4ENS6_16DefaultPtrTraitsEiEENS_6detail16IndexBoundsCheckILm5EiEESD_Lm5ESE_iEENS8_INS9_ISB_SC_Lm4ESE_iEESI_SC_Lm5ESE_iEESJ_PSD_iiiiiiiii.num_agpr, 0
	.set _ZN2at6native12_GLOBAL__N_128conv_depthwise3d_cuda_kernelIN3c108BFloat16EfLi3ELi3ELi3ELi1ELi1ELi1EEEvN5torch10headeronly6detail27GenericPackedTensorAccessorINS7_14TensorAccessorINS3_8ArrayRefIlEEKT_Lm4ENS6_16DefaultPtrTraitsEiEENS_6detail16IndexBoundsCheckILm5EiEESD_Lm5ESE_iEENS8_INS9_ISB_SC_Lm4ESE_iEESI_SC_Lm5ESE_iEESJ_PSD_iiiiiiiii.numbered_sgpr, 88
	.set _ZN2at6native12_GLOBAL__N_128conv_depthwise3d_cuda_kernelIN3c108BFloat16EfLi3ELi3ELi3ELi1ELi1ELi1EEEvN5torch10headeronly6detail27GenericPackedTensorAccessorINS7_14TensorAccessorINS3_8ArrayRefIlEEKT_Lm4ENS6_16DefaultPtrTraitsEiEENS_6detail16IndexBoundsCheckILm5EiEESD_Lm5ESE_iEENS8_INS9_ISB_SC_Lm4ESE_iEESI_SC_Lm5ESE_iEESJ_PSD_iiiiiiiii.num_named_barrier, 0
	.set _ZN2at6native12_GLOBAL__N_128conv_depthwise3d_cuda_kernelIN3c108BFloat16EfLi3ELi3ELi3ELi1ELi1ELi1EEEvN5torch10headeronly6detail27GenericPackedTensorAccessorINS7_14TensorAccessorINS3_8ArrayRefIlEEKT_Lm4ENS6_16DefaultPtrTraitsEiEENS_6detail16IndexBoundsCheckILm5EiEESD_Lm5ESE_iEENS8_INS9_ISB_SC_Lm4ESE_iEESI_SC_Lm5ESE_iEESJ_PSD_iiiiiiiii.private_seg_size, 0
	.set _ZN2at6native12_GLOBAL__N_128conv_depthwise3d_cuda_kernelIN3c108BFloat16EfLi3ELi3ELi3ELi1ELi1ELi1EEEvN5torch10headeronly6detail27GenericPackedTensorAccessorINS7_14TensorAccessorINS3_8ArrayRefIlEEKT_Lm4ENS6_16DefaultPtrTraitsEiEENS_6detail16IndexBoundsCheckILm5EiEESD_Lm5ESE_iEENS8_INS9_ISB_SC_Lm4ESE_iEESI_SC_Lm5ESE_iEESJ_PSD_iiiiiiiii.uses_vcc, 1
	.set _ZN2at6native12_GLOBAL__N_128conv_depthwise3d_cuda_kernelIN3c108BFloat16EfLi3ELi3ELi3ELi1ELi1ELi1EEEvN5torch10headeronly6detail27GenericPackedTensorAccessorINS7_14TensorAccessorINS3_8ArrayRefIlEEKT_Lm4ENS6_16DefaultPtrTraitsEiEENS_6detail16IndexBoundsCheckILm5EiEESD_Lm5ESE_iEENS8_INS9_ISB_SC_Lm4ESE_iEESI_SC_Lm5ESE_iEESJ_PSD_iiiiiiiii.uses_flat_scratch, 0
	.set _ZN2at6native12_GLOBAL__N_128conv_depthwise3d_cuda_kernelIN3c108BFloat16EfLi3ELi3ELi3ELi1ELi1ELi1EEEvN5torch10headeronly6detail27GenericPackedTensorAccessorINS7_14TensorAccessorINS3_8ArrayRefIlEEKT_Lm4ENS6_16DefaultPtrTraitsEiEENS_6detail16IndexBoundsCheckILm5EiEESD_Lm5ESE_iEENS8_INS9_ISB_SC_Lm4ESE_iEESI_SC_Lm5ESE_iEESJ_PSD_iiiiiiiii.has_dyn_sized_stack, 0
	.set _ZN2at6native12_GLOBAL__N_128conv_depthwise3d_cuda_kernelIN3c108BFloat16EfLi3ELi3ELi3ELi1ELi1ELi1EEEvN5torch10headeronly6detail27GenericPackedTensorAccessorINS7_14TensorAccessorINS3_8ArrayRefIlEEKT_Lm4ENS6_16DefaultPtrTraitsEiEENS_6detail16IndexBoundsCheckILm5EiEESD_Lm5ESE_iEENS8_INS9_ISB_SC_Lm4ESE_iEESI_SC_Lm5ESE_iEESJ_PSD_iiiiiiiii.has_recursion, 0
	.set _ZN2at6native12_GLOBAL__N_128conv_depthwise3d_cuda_kernelIN3c108BFloat16EfLi3ELi3ELi3ELi1ELi1ELi1EEEvN5torch10headeronly6detail27GenericPackedTensorAccessorINS7_14TensorAccessorINS3_8ArrayRefIlEEKT_Lm4ENS6_16DefaultPtrTraitsEiEENS_6detail16IndexBoundsCheckILm5EiEESD_Lm5ESE_iEENS8_INS9_ISB_SC_Lm4ESE_iEESI_SC_Lm5ESE_iEESJ_PSD_iiiiiiiii.has_indirect_call, 0
	.section	.AMDGPU.csdata,"",@progbits
; Kernel info:
; codeLenInByte = 3700
; TotalNumSgprs: 92
; NumVgprs: 26
; ScratchSize: 0
; MemoryBound: 0
; FloatMode: 240
; IeeeMode: 1
; LDSByteSize: 0 bytes/workgroup (compile time only)
; SGPRBlocks: 11
; VGPRBlocks: 6
; NumSGPRsForWavesPerEU: 92
; NumVGPRsForWavesPerEU: 26
; Occupancy: 8
; WaveLimiterHint : 0
; COMPUTE_PGM_RSRC2:SCRATCH_EN: 0
; COMPUTE_PGM_RSRC2:USER_SGPR: 6
; COMPUTE_PGM_RSRC2:TRAP_HANDLER: 0
; COMPUTE_PGM_RSRC2:TGID_X_EN: 1
; COMPUTE_PGM_RSRC2:TGID_Y_EN: 0
; COMPUTE_PGM_RSRC2:TGID_Z_EN: 0
; COMPUTE_PGM_RSRC2:TIDIG_COMP_CNT: 0
	.section	.text._ZN2at6native12_GLOBAL__N_128conv_depthwise3d_cuda_kernelIN3c108BFloat16EfLin1ELin1ELin1ELi1ELi1ELi1EEEvN5torch10headeronly6detail27GenericPackedTensorAccessorINS7_14TensorAccessorINS3_8ArrayRefIlEEKT_Lm4ENS6_16DefaultPtrTraitsEiEENS_6detail16IndexBoundsCheckILm5EiEESD_Lm5ESE_iEENS8_INS9_ISB_SC_Lm4ESE_iEESI_SC_Lm5ESE_iEESJ_PSD_iiiiiiiii,"axG",@progbits,_ZN2at6native12_GLOBAL__N_128conv_depthwise3d_cuda_kernelIN3c108BFloat16EfLin1ELin1ELin1ELi1ELi1ELi1EEEvN5torch10headeronly6detail27GenericPackedTensorAccessorINS7_14TensorAccessorINS3_8ArrayRefIlEEKT_Lm4ENS6_16DefaultPtrTraitsEiEENS_6detail16IndexBoundsCheckILm5EiEESD_Lm5ESE_iEENS8_INS9_ISB_SC_Lm4ESE_iEESI_SC_Lm5ESE_iEESJ_PSD_iiiiiiiii,comdat
	.globl	_ZN2at6native12_GLOBAL__N_128conv_depthwise3d_cuda_kernelIN3c108BFloat16EfLin1ELin1ELin1ELi1ELi1ELi1EEEvN5torch10headeronly6detail27GenericPackedTensorAccessorINS7_14TensorAccessorINS3_8ArrayRefIlEEKT_Lm4ENS6_16DefaultPtrTraitsEiEENS_6detail16IndexBoundsCheckILm5EiEESD_Lm5ESE_iEENS8_INS9_ISB_SC_Lm4ESE_iEESI_SC_Lm5ESE_iEESJ_PSD_iiiiiiiii ; -- Begin function _ZN2at6native12_GLOBAL__N_128conv_depthwise3d_cuda_kernelIN3c108BFloat16EfLin1ELin1ELin1ELi1ELi1ELi1EEEvN5torch10headeronly6detail27GenericPackedTensorAccessorINS7_14TensorAccessorINS3_8ArrayRefIlEEKT_Lm4ENS6_16DefaultPtrTraitsEiEENS_6detail16IndexBoundsCheckILm5EiEESD_Lm5ESE_iEENS8_INS9_ISB_SC_Lm4ESE_iEESI_SC_Lm5ESE_iEESJ_PSD_iiiiiiiii
	.p2align	8
	.type	_ZN2at6native12_GLOBAL__N_128conv_depthwise3d_cuda_kernelIN3c108BFloat16EfLin1ELin1ELin1ELi1ELi1ELi1EEEvN5torch10headeronly6detail27GenericPackedTensorAccessorINS7_14TensorAccessorINS3_8ArrayRefIlEEKT_Lm4ENS6_16DefaultPtrTraitsEiEENS_6detail16IndexBoundsCheckILm5EiEESD_Lm5ESE_iEENS8_INS9_ISB_SC_Lm4ESE_iEESI_SC_Lm5ESE_iEESJ_PSD_iiiiiiiii,@function
_ZN2at6native12_GLOBAL__N_128conv_depthwise3d_cuda_kernelIN3c108BFloat16EfLin1ELin1ELin1ELi1ELi1ELi1EEEvN5torch10headeronly6detail27GenericPackedTensorAccessorINS7_14TensorAccessorINS3_8ArrayRefIlEEKT_Lm4ENS6_16DefaultPtrTraitsEiEENS_6detail16IndexBoundsCheckILm5EiEESD_Lm5ESE_iEENS8_INS9_ISB_SC_Lm4ESE_iEESI_SC_Lm5ESE_iEESJ_PSD_iiiiiiiii: ; @_ZN2at6native12_GLOBAL__N_128conv_depthwise3d_cuda_kernelIN3c108BFloat16EfLin1ELin1ELin1ELi1ELi1ELi1EEEvN5torch10headeronly6detail27GenericPackedTensorAccessorINS7_14TensorAccessorINS3_8ArrayRefIlEEKT_Lm4ENS6_16DefaultPtrTraitsEiEENS_6detail16IndexBoundsCheckILm5EiEESD_Lm5ESE_iEENS8_INS9_ISB_SC_Lm4ESE_iEESI_SC_Lm5ESE_iEESJ_PSD_iiiiiiiii
; %bb.0:
	s_load_dwordx4 s[8:11], s[4:5], 0xc
	s_load_dwordx4 s[12:15], s[4:5], 0x38
	s_load_dwordx2 s[34:35], s[4:5], 0x48
	s_load_dword s3, s[4:5], 0xcc
	v_mov_b32_e32 v1, 0
	v_mov_b32_e32 v3, s6
	s_waitcnt lgkmcnt(0)
	s_abs_i32 s2, s8
	v_cvt_f32_u32_e32 v2, s2
	s_add_u32 s0, s4, 0xc0
	s_addc_u32 s1, s5, 0
	s_and_b32 s6, s3, 0xffff
	v_rcp_iflag_f32_e32 v2, v2
	v_mad_u64_u32 v[0:1], s[16:17], s6, v3, v[0:1]
	s_mul_i32 s36, s35, s12
	v_mul_f32_e32 v2, 0x4f7ffffe, v2
	v_cvt_u32_f32_e32 v2, v2
	s_ashr_i32 s37, s36, 31
	v_cmp_gt_i64_e32 vcc, s[36:37], v[0:1]
	v_readfirstlane_b32 s3, v2
	s_and_saveexec_b64 s[16:17], vcc
	s_cbranch_execz .LBB10_17
; %bb.1:
	s_sub_i32 s16, 0, s2
	s_mul_i32 s16, s16, s3
	s_mul_hi_u32 s16, s3, s16
	s_ashr_i32 s7, s8, 31
	s_abs_i32 s8, s13
	s_add_i32 s3, s3, s16
	s_mul_hi_u32 s3, s8, s3
	s_load_dwordx2 s[38:39], s[4:5], 0x90
	s_load_dwordx4 s[16:19], s[4:5], 0x98
	s_load_dwordx2 s[40:41], s[4:5], 0xa8
	s_load_dwordx4 s[20:23], s[4:5], 0x70
	s_waitcnt lgkmcnt(0)
	s_mul_i32 s23, s3, s2
	s_ashr_i32 s12, s13, 31
	s_sub_i32 s23, s8, s23
	s_xor_b32 s7, s12, s7
	s_add_i32 s24, s3, 1
	s_sub_i32 s25, s23, s2
	s_cmp_ge_u32 s23, s2
	s_cselect_b32 s3, s24, s3
	s_cselect_b32 s23, s25, s23
	s_add_i32 s24, s3, 1
	s_cmp_ge_u32 s23, s2
	s_cselect_b32 s2, s24, s3
	s_xor_b32 s2, s2, s7
	s_sub_i32 s7, s2, s7
	s_cmp_gt_i32 s20, 0
	s_cselect_b64 s[2:3], -1, 0
	s_cmp_gt_i32 s21, 0
	s_cselect_b64 s[42:43], -1, 0
	;; [unrolled: 2-line block ×3, first 2 shown]
	s_sub_i32 s24, s10, s21
	s_load_dword s54, s[0:1], 0x0
	s_load_dword s23, s[4:5], 0x7c
	s_sub_i32 s0, s11, s22
	s_mul_i32 s56, s11, s24
	s_ashr_i32 s1, s0, 31
	s_ashr_i32 s57, s56, 31
	s_cmp_lg_u64 s[38:39], 0
	s_cselect_b64 s[46:47], -1, 0
	s_abs_i32 s33, s34
	v_cvt_f32_u32_e32 v2, s33
	s_abs_i32 s63, s15
	v_cvt_f32_u32_e32 v3, s63
	s_load_dwordx2 s[48:49], s[4:5], 0x0
	s_load_dwordx4 s[24:27], s[4:5], 0x1c
	s_load_dword s62, s[4:5], 0x2c
	s_load_dwordx2 s[50:51], s[4:5], 0x30
	v_rcp_iflag_f32_e32 v2, v2
	s_load_dwordx2 s[52:53], s[4:5], 0x60
	s_load_dwordx4 s[28:31], s[4:5], 0x50
	v_rcp_iflag_f32_e32 v3, v3
	s_sub_i32 s4, 0, s33
	v_mul_f32_e32 v2, 0x4f7ffffe, v2
	v_cvt_u32_f32_e32 v2, v2
	s_abs_i32 s65, s14
	v_mul_f32_e32 v3, 0x4f7ffffe, v3
	v_cvt_f32_u32_e32 v5, s65
	v_mul_lo_u32 v4, s4, v2
	v_cvt_u32_f32_e32 v3, v3
	s_sub_i32 s4, 0, s63
	v_rcp_iflag_f32_e32 v5, v5
	v_mul_hi_u32 v4, v2, v4
	v_mul_lo_u32 v6, s4, v3
	s_abs_i32 s67, s7
	s_sub_i32 s4, 0, s65
	v_add_u32_e32 v8, v2, v4
	v_mul_f32_e32 v4, 0x4f7ffffe, v5
	v_cvt_f32_u32_e32 v5, s8
	v_mul_hi_u32 v2, v3, v6
	v_cvt_f32_u32_e32 v6, s67
	v_cvt_u32_f32_e32 v4, v4
	v_rcp_iflag_f32_e32 v5, v5
	v_add_u32_e32 v9, v3, v2
	v_rcp_iflag_f32_e32 v6, v6
	v_mul_lo_u32 v7, s4, v4
	v_mul_f32_e32 v5, 0x4f7ffffe, v5
	v_cvt_u32_f32_e32 v5, v5
	v_mul_f32_e32 v6, 0x4f7ffffe, v6
	v_cvt_u32_f32_e32 v6, v6
	s_sub_i32 s4, 0, s8
	v_mul_lo_u32 v10, s4, v5
	s_sub_i32 s4, 0, s67
	v_mul_lo_u32 v11, s4, v6
	v_mul_hi_u32 v2, v4, v7
	v_mul_hi_u32 v3, v5, v10
	v_cndmask_b32_e64 v7, 0, 1, s[2:3]
	v_mul_hi_u32 v12, v6, v11
	s_waitcnt lgkmcnt(0)
	s_mul_i32 s64, s54, s6
	s_ashr_i32 s66, s34, 31
	s_ashr_i32 s68, s15, 31
	;; [unrolled: 1-line block ×3, first 2 shown]
	v_add_u32_e32 v10, v4, v2
	v_add_u32_e32 v11, v5, v3
	s_ashr_i32 s70, s7, 31
	v_add_u32_e32 v12, v6, v12
	s_lshl_b64 s[54:55], s[0:1], 1
	s_lshl_b64 s[56:57], s[56:57], 1
	s_movk_i32 s71, 0x7fff
	v_mov_b32_e32 v13, 0x7fc0
	s_mov_b64 s[58:59], 0
	v_cmp_ne_u32_e64 s[0:1], 1, v7
	s_branch .LBB10_3
.LBB10_2:                               ;   in Loop: Header=BB10_3 Depth=1
	v_bfe_u32 v3, v21, 16, 1
	v_add3_u32 v4, v21, v3, s71
	v_mul_lo_u32 v3, v17, s35
	v_cmp_o_f32_e32 vcc, v21, v21
	v_cndmask_b32_sdwa v6, v13, v4, vcc dst_sel:DWORD dst_unused:UNUSED_PAD src0_sel:DWORD src1_sel:WORD_1
	v_mul_lo_u32 v2, s28, v2
	v_ashrrev_i32_e32 v4, 31, v3
	v_lshlrev_b64 v[3:4], 1, v[3:4]
	v_mov_b32_e32 v5, s51
	v_add_co_u32_e32 v7, vcc, s50, v3
	v_addc_co_u32_e32 v5, vcc, v5, v4, vcc
	v_ashrrev_i32_e32 v3, 31, v2
	v_mul_lo_u32 v4, s29, v16
	v_lshlrev_b64 v[2:3], 1, v[2:3]
	v_add_co_u32_e32 v7, vcc, v7, v2
	v_addc_co_u32_e32 v16, vcc, v5, v3, vcc
	v_ashrrev_i32_e32 v5, 31, v4
	v_lshlrev_b64 v[2:3], 1, v[4:5]
	v_mul_lo_u32 v4, s30, v15
	v_add_co_u32_e32 v7, vcc, v7, v2
	v_addc_co_u32_e32 v15, vcc, v16, v3, vcc
	v_ashrrev_i32_e32 v5, 31, v4
	v_lshlrev_b64 v[2:3], 1, v[4:5]
	v_mul_lo_u32 v4, s31, v14
	v_add_co_u32_e32 v7, vcc, v7, v2
	v_addc_co_u32_e32 v14, vcc, v15, v3, vcc
	v_ashrrev_i32_e32 v5, 31, v4
	v_add_co_u32_e32 v0, vcc, s64, v0
	v_lshlrev_b64 v[2:3], 1, v[4:5]
	v_addc_co_u32_e32 v1, vcc, 0, v1, vcc
	v_cmp_le_i64_e32 vcc, s[36:37], v[0:1]
	v_add_co_u32_e64 v2, s[2:3], v7, v2
	v_addc_co_u32_e64 v3, s[2:3], v14, v3, s[2:3]
	s_or_b64 s[58:59], vcc, s[58:59]
	global_store_short v[2:3], v6, off
	s_andn2_b64 exec, exec, s[58:59]
	s_cbranch_execz .LBB10_17
.LBB10_3:                               ; =>This Loop Header: Depth=1
                                        ;     Child Loop BB10_6 Depth 2
                                        ;       Child Loop BB10_9 Depth 3
                                        ;         Child Loop BB10_12 Depth 4
	v_sub_u32_e32 v2, 0, v0
	v_max_i32_e32 v2, v0, v2
	v_mul_hi_u32 v3, v2, v8
	v_ashrrev_i32_e32 v5, 31, v0
	v_xor_b32_e32 v5, s66, v5
	v_mul_lo_u32 v4, v3, s33
	v_add_u32_e32 v6, 1, v3
	v_sub_u32_e32 v2, v2, v4
	v_cmp_le_u32_e32 vcc, s33, v2
	v_subrev_u32_e32 v4, s33, v2
	v_cndmask_b32_e32 v3, v3, v6, vcc
	v_cndmask_b32_e32 v2, v2, v4, vcc
	v_add_u32_e32 v4, 1, v3
	v_cmp_le_u32_e32 vcc, s33, v2
	v_cndmask_b32_e32 v2, v3, v4, vcc
	v_xor_b32_e32 v2, v2, v5
	v_sub_u32_e32 v2, v2, v5
	v_sub_u32_e32 v3, 0, v2
	v_max_i32_e32 v3, v2, v3
	v_mul_hi_u32 v4, v3, v9
	v_ashrrev_i32_e32 v6, 31, v2
	v_xor_b32_e32 v6, s68, v6
	v_mul_lo_u32 v5, v4, s63
	v_add_u32_e32 v7, 1, v4
	v_sub_u32_e32 v3, v3, v5
	v_cmp_le_u32_e32 vcc, s63, v3
	v_subrev_u32_e32 v5, s63, v3
	v_cndmask_b32_e32 v4, v4, v7, vcc
	v_cndmask_b32_e32 v3, v3, v5, vcc
	v_add_u32_e32 v5, 1, v4
	v_cmp_le_u32_e32 vcc, s63, v3
	v_cndmask_b32_e32 v3, v4, v5, vcc
	v_xor_b32_e32 v3, v3, v6
	v_sub_u32_e32 v3, v3, v6
	v_sub_u32_e32 v4, 0, v3
	v_max_i32_e32 v4, v3, v4
	v_mul_hi_u32 v5, v4, v10
	v_ashrrev_i32_e32 v7, 31, v3
	v_xor_b32_e32 v7, s69, v7
	v_mul_lo_u32 v15, v3, s15
	v_mul_lo_u32 v6, v5, s65
	v_add_u32_e32 v14, 1, v5
	v_sub_u32_e32 v15, v2, v15
	v_sub_u32_e32 v4, v4, v6
	v_cmp_le_u32_e32 vcc, s65, v4
	v_subrev_u32_e32 v6, s65, v4
	v_cndmask_b32_e32 v5, v5, v14, vcc
	v_cndmask_b32_e32 v4, v4, v6, vcc
	v_add_u32_e32 v6, 1, v5
	v_cmp_le_u32_e32 vcc, s65, v4
	v_cndmask_b32_e32 v4, v5, v6, vcc
	v_xor_b32_e32 v4, v4, v7
	v_sub_u32_e32 v4, v4, v7
	v_sub_u32_e32 v5, 0, v4
	v_max_i32_e32 v5, v4, v5
	v_mul_hi_u32 v6, v5, v11
	v_ashrrev_i32_e32 v17, 31, v4
	v_xor_b32_e32 v17, s12, v17
	v_mul_lo_u32 v7, v2, s34
	v_mul_lo_u32 v14, v6, s8
	;; [unrolled: 1-line block ×3, first 2 shown]
	v_sub_u32_e32 v5, v5, v14
	v_add_u32_e32 v14, 1, v6
	v_cmp_le_u32_e32 vcc, s8, v5
	v_cndmask_b32_e32 v6, v6, v14, vcc
	v_subrev_u32_e32 v14, s8, v5
	v_cndmask_b32_e32 v5, v5, v14, vcc
	v_add_u32_e32 v14, 1, v6
	v_cmp_le_u32_e32 vcc, s8, v5
	v_cndmask_b32_e32 v5, v6, v14, vcc
	v_xor_b32_e32 v5, v5, v17
	v_sub_u32_e32 v17, v5, v17
	v_mul_lo_u32 v5, v17, s13
	v_sub_u32_e32 v14, v0, v7
	v_sub_u32_e32 v16, v3, v16
	s_and_b64 vcc, exec, s[0:1]
	v_sub_u32_e32 v2, v4, v5
	v_ashrrev_i32_e32 v3, 31, v2
	s_cbranch_vccnz .LBB10_14
; %bb.4:                                ;   in Loop: Header=BB10_3 Depth=1
	v_mul_lo_u32 v4, v14, s18
	s_mov_b32 s72, 0
	v_subrev_u32_e32 v18, s41, v4
	v_mul_lo_u32 v4, v15, s17
	v_subrev_u32_e32 v19, s40, v4
	v_mul_lo_u32 v4, v16, s16
	;; [unrolled: 2-line block ×3, first 2 shown]
	v_ashrrev_i32_e32 v5, 31, v4
	v_lshlrev_b64 v[4:5], 1, v[4:5]
	v_add_co_u32_e32 v6, vcc, s48, v4
	v_mov_b32_e32 v4, s49
	v_addc_co_u32_e32 v7, vcc, v4, v5, vcc
	v_sub_u32_e32 v5, 0, v2
	v_max_i32_e32 v5, v2, v5
	v_mul_hi_u32 v21, v5, v12
	v_xor_b32_e32 v4, s70, v3
	v_mul_lo_u32 v22, v21, s67
	v_sub_u32_e32 v5, v5, v22
	v_cmp_le_u32_e32 vcc, s67, v5
	v_add_u32_e32 v22, 1, v21
	v_cndmask_b32_e32 v21, v21, v22, vcc
	v_subrev_u32_e32 v22, s67, v5
	v_cndmask_b32_e32 v5, v5, v22, vcc
	v_cmp_le_u32_e32 vcc, s67, v5
	v_add_u32_e32 v5, 1, v21
	v_cndmask_b32_e32 v5, v21, v5, vcc
	v_xor_b32_e32 v5, v5, v4
	v_sub_u32_e32 v4, v5, v4
	v_mul_lo_u32 v4, s25, v4
	v_mov_b32_e32 v21, s53
	v_ashrrev_i32_e32 v5, 31, v4
	v_lshlrev_b64 v[4:5], 1, v[4:5]
	v_add_co_u32_e32 v6, vcc, v6, v4
	v_mul_lo_u32 v4, s26, v20
	v_addc_co_u32_e32 v7, vcc, v7, v5, vcc
	v_ashrrev_i32_e32 v5, 31, v4
	v_lshlrev_b64 v[4:5], 1, v[4:5]
	v_add_co_u32_e32 v6, vcc, v6, v4
	v_mul_lo_u32 v4, s27, v19
	v_addc_co_u32_e32 v7, vcc, v7, v5, vcc
	;; [unrolled: 5-line block ×4, first 2 shown]
	v_ashrrev_i32_e32 v7, 31, v6
	v_lshlrev_b64 v[6:7], 1, v[6:7]
	v_add_co_u32_e32 v6, vcc, s52, v6
	v_addc_co_u32_e32 v7, vcc, v21, v7, vcc
	v_mov_b32_e32 v21, 0
	s_branch .LBB10_6
.LBB10_5:                               ;   in Loop: Header=BB10_6 Depth=2
	v_mov_b32_e32 v22, s57
	s_add_i32 s72, s72, 1
	v_add_co_u32_e32 v4, vcc, s56, v4
	s_cmp_eq_u32 s72, s20
	v_addc_co_u32_e32 v5, vcc, v5, v22, vcc
	s_cbranch_scc1 .LBB10_15
.LBB10_6:                               ;   Parent Loop BB10_3 Depth=1
                                        ; =>  This Loop Header: Depth=2
                                        ;       Child Loop BB10_9 Depth 3
                                        ;         Child Loop BB10_12 Depth 4
	s_andn2_b64 vcc, exec, s[42:43]
	s_cbranch_vccnz .LBB10_5
; %bb.7:                                ;   in Loop: Header=BB10_6 Depth=2
	v_add_u32_e32 v22, s72, v20
	v_cmp_lt_i32_e64 s[2:3], -1, v22
	v_cmp_gt_i32_e64 s[4:5], s9, v22
	s_mov_b32 s73, 0
	s_branch .LBB10_9
.LBB10_8:                               ;   in Loop: Header=BB10_9 Depth=3
	v_mov_b32_e32 v22, s55
	s_add_i32 s73, s73, 1
	v_add_co_u32_e32 v4, vcc, s54, v4
	s_cmp_eq_u32 s73, s21
	v_addc_co_u32_e32 v5, vcc, v5, v22, vcc
	s_cbranch_scc1 .LBB10_5
.LBB10_9:                               ;   Parent Loop BB10_3 Depth=1
                                        ;     Parent Loop BB10_6 Depth=2
                                        ; =>    This Loop Header: Depth=3
                                        ;         Child Loop BB10_12 Depth 4
	s_andn2_b64 vcc, exec, s[44:45]
	s_cbranch_vccnz .LBB10_8
; %bb.10:                               ;   in Loop: Header=BB10_9 Depth=3
	v_add_u32_e32 v22, s73, v19
	v_cmp_lt_i32_e32 vcc, -1, v22
	s_and_b64 s[60:61], s[2:3], vcc
	v_cmp_gt_i32_e32 vcc, s10, v22
	v_mov_b32_e32 v22, v18
	s_mov_b32 s74, s22
	s_branch .LBB10_12
.LBB10_11:                              ;   in Loop: Header=BB10_12 Depth=4
	s_or_b64 exec, exec, s[6:7]
	v_add_co_u32_e64 v6, s[6:7], 2, v6
	v_addc_co_u32_e64 v7, s[6:7], 0, v7, s[6:7]
	v_add_co_u32_e64 v4, s[6:7], 2, v4
	s_add_i32 s74, s74, -1
	v_addc_co_u32_e64 v5, s[6:7], 0, v5, s[6:7]
	s_cmp_eq_u32 s74, 0
	v_add_u32_e32 v22, 1, v22
	s_cbranch_scc1 .LBB10_8
.LBB10_12:                              ;   Parent Loop BB10_3 Depth=1
                                        ;     Parent Loop BB10_6 Depth=2
                                        ;       Parent Loop BB10_9 Depth=3
                                        ; =>      This Inner Loop Header: Depth=4
	v_cmp_lt_i32_e64 s[6:7], -1, v22
	s_and_b64 s[6:7], s[60:61], s[6:7]
	s_and_b64 s[6:7], s[6:7], s[4:5]
	s_and_b64 s[76:77], s[6:7], vcc
	v_cmp_gt_i32_e64 s[6:7], s11, v22
	s_and_b64 s[76:77], s[76:77], s[6:7]
	s_and_saveexec_b64 s[6:7], s[76:77]
	s_cbranch_execz .LBB10_11
; %bb.13:                               ;   in Loop: Header=BB10_12 Depth=4
	global_load_ushort v23, v[4:5], off
	global_load_ushort v24, v[6:7], off
	s_waitcnt vmcnt(1)
	v_lshlrev_b32_e32 v23, 16, v23
	s_waitcnt vmcnt(0)
	v_lshlrev_b32_e32 v24, 16, v24
	v_fmac_f32_e32 v21, v24, v23
	s_branch .LBB10_11
.LBB10_14:                              ;   in Loop: Header=BB10_3 Depth=1
	v_mov_b32_e32 v21, 0
.LBB10_15:                              ;   in Loop: Header=BB10_3 Depth=1
	s_and_b64 vcc, exec, s[46:47]
	s_cbranch_vccz .LBB10_2
; %bb.16:                               ;   in Loop: Header=BB10_3 Depth=1
	v_lshlrev_b64 v[3:4], 1, v[2:3]
	v_mov_b32_e32 v5, s39
	v_add_co_u32_e32 v3, vcc, s38, v3
	v_addc_co_u32_e32 v4, vcc, v5, v4, vcc
	global_load_ushort v3, v[3:4], off
	s_waitcnt vmcnt(0)
	v_lshlrev_b32_e32 v3, 16, v3
	v_add_f32_e32 v21, v21, v3
	s_branch .LBB10_2
.LBB10_17:
	s_endpgm
	.section	.rodata,"a",@progbits
	.p2align	6, 0x0
	.amdhsa_kernel _ZN2at6native12_GLOBAL__N_128conv_depthwise3d_cuda_kernelIN3c108BFloat16EfLin1ELin1ELin1ELi1ELi1ELi1EEEvN5torch10headeronly6detail27GenericPackedTensorAccessorINS7_14TensorAccessorINS3_8ArrayRefIlEEKT_Lm4ENS6_16DefaultPtrTraitsEiEENS_6detail16IndexBoundsCheckILm5EiEESD_Lm5ESE_iEENS8_INS9_ISB_SC_Lm4ESE_iEESI_SC_Lm5ESE_iEESJ_PSD_iiiiiiiii
		.amdhsa_group_segment_fixed_size 0
		.amdhsa_private_segment_fixed_size 0
		.amdhsa_kernarg_size 448
		.amdhsa_user_sgpr_count 6
		.amdhsa_user_sgpr_private_segment_buffer 1
		.amdhsa_user_sgpr_dispatch_ptr 0
		.amdhsa_user_sgpr_queue_ptr 0
		.amdhsa_user_sgpr_kernarg_segment_ptr 1
		.amdhsa_user_sgpr_dispatch_id 0
		.amdhsa_user_sgpr_flat_scratch_init 0
		.amdhsa_user_sgpr_private_segment_size 0
		.amdhsa_uses_dynamic_stack 0
		.amdhsa_system_sgpr_private_segment_wavefront_offset 0
		.amdhsa_system_sgpr_workgroup_id_x 1
		.amdhsa_system_sgpr_workgroup_id_y 0
		.amdhsa_system_sgpr_workgroup_id_z 0
		.amdhsa_system_sgpr_workgroup_info 0
		.amdhsa_system_vgpr_workitem_id 0
		.amdhsa_next_free_vgpr 25
		.amdhsa_next_free_sgpr 78
		.amdhsa_reserve_vcc 1
		.amdhsa_reserve_flat_scratch 0
		.amdhsa_float_round_mode_32 0
		.amdhsa_float_round_mode_16_64 0
		.amdhsa_float_denorm_mode_32 3
		.amdhsa_float_denorm_mode_16_64 3
		.amdhsa_dx10_clamp 1
		.amdhsa_ieee_mode 1
		.amdhsa_fp16_overflow 0
		.amdhsa_exception_fp_ieee_invalid_op 0
		.amdhsa_exception_fp_denorm_src 0
		.amdhsa_exception_fp_ieee_div_zero 0
		.amdhsa_exception_fp_ieee_overflow 0
		.amdhsa_exception_fp_ieee_underflow 0
		.amdhsa_exception_fp_ieee_inexact 0
		.amdhsa_exception_int_div_zero 0
	.end_amdhsa_kernel
	.section	.text._ZN2at6native12_GLOBAL__N_128conv_depthwise3d_cuda_kernelIN3c108BFloat16EfLin1ELin1ELin1ELi1ELi1ELi1EEEvN5torch10headeronly6detail27GenericPackedTensorAccessorINS7_14TensorAccessorINS3_8ArrayRefIlEEKT_Lm4ENS6_16DefaultPtrTraitsEiEENS_6detail16IndexBoundsCheckILm5EiEESD_Lm5ESE_iEENS8_INS9_ISB_SC_Lm4ESE_iEESI_SC_Lm5ESE_iEESJ_PSD_iiiiiiiii,"axG",@progbits,_ZN2at6native12_GLOBAL__N_128conv_depthwise3d_cuda_kernelIN3c108BFloat16EfLin1ELin1ELin1ELi1ELi1ELi1EEEvN5torch10headeronly6detail27GenericPackedTensorAccessorINS7_14TensorAccessorINS3_8ArrayRefIlEEKT_Lm4ENS6_16DefaultPtrTraitsEiEENS_6detail16IndexBoundsCheckILm5EiEESD_Lm5ESE_iEENS8_INS9_ISB_SC_Lm4ESE_iEESI_SC_Lm5ESE_iEESJ_PSD_iiiiiiiii,comdat
.Lfunc_end10:
	.size	_ZN2at6native12_GLOBAL__N_128conv_depthwise3d_cuda_kernelIN3c108BFloat16EfLin1ELin1ELin1ELi1ELi1ELi1EEEvN5torch10headeronly6detail27GenericPackedTensorAccessorINS7_14TensorAccessorINS3_8ArrayRefIlEEKT_Lm4ENS6_16DefaultPtrTraitsEiEENS_6detail16IndexBoundsCheckILm5EiEESD_Lm5ESE_iEENS8_INS9_ISB_SC_Lm4ESE_iEESI_SC_Lm5ESE_iEESJ_PSD_iiiiiiiii, .Lfunc_end10-_ZN2at6native12_GLOBAL__N_128conv_depthwise3d_cuda_kernelIN3c108BFloat16EfLin1ELin1ELin1ELi1ELi1ELi1EEEvN5torch10headeronly6detail27GenericPackedTensorAccessorINS7_14TensorAccessorINS3_8ArrayRefIlEEKT_Lm4ENS6_16DefaultPtrTraitsEiEENS_6detail16IndexBoundsCheckILm5EiEESD_Lm5ESE_iEENS8_INS9_ISB_SC_Lm4ESE_iEESI_SC_Lm5ESE_iEESJ_PSD_iiiiiiiii
                                        ; -- End function
	.set _ZN2at6native12_GLOBAL__N_128conv_depthwise3d_cuda_kernelIN3c108BFloat16EfLin1ELin1ELin1ELi1ELi1ELi1EEEvN5torch10headeronly6detail27GenericPackedTensorAccessorINS7_14TensorAccessorINS3_8ArrayRefIlEEKT_Lm4ENS6_16DefaultPtrTraitsEiEENS_6detail16IndexBoundsCheckILm5EiEESD_Lm5ESE_iEENS8_INS9_ISB_SC_Lm4ESE_iEESI_SC_Lm5ESE_iEESJ_PSD_iiiiiiiii.num_vgpr, 25
	.set _ZN2at6native12_GLOBAL__N_128conv_depthwise3d_cuda_kernelIN3c108BFloat16EfLin1ELin1ELin1ELi1ELi1ELi1EEEvN5torch10headeronly6detail27GenericPackedTensorAccessorINS7_14TensorAccessorINS3_8ArrayRefIlEEKT_Lm4ENS6_16DefaultPtrTraitsEiEENS_6detail16IndexBoundsCheckILm5EiEESD_Lm5ESE_iEENS8_INS9_ISB_SC_Lm4ESE_iEESI_SC_Lm5ESE_iEESJ_PSD_iiiiiiiii.num_agpr, 0
	.set _ZN2at6native12_GLOBAL__N_128conv_depthwise3d_cuda_kernelIN3c108BFloat16EfLin1ELin1ELin1ELi1ELi1ELi1EEEvN5torch10headeronly6detail27GenericPackedTensorAccessorINS7_14TensorAccessorINS3_8ArrayRefIlEEKT_Lm4ENS6_16DefaultPtrTraitsEiEENS_6detail16IndexBoundsCheckILm5EiEESD_Lm5ESE_iEENS8_INS9_ISB_SC_Lm4ESE_iEESI_SC_Lm5ESE_iEESJ_PSD_iiiiiiiii.numbered_sgpr, 78
	.set _ZN2at6native12_GLOBAL__N_128conv_depthwise3d_cuda_kernelIN3c108BFloat16EfLin1ELin1ELin1ELi1ELi1ELi1EEEvN5torch10headeronly6detail27GenericPackedTensorAccessorINS7_14TensorAccessorINS3_8ArrayRefIlEEKT_Lm4ENS6_16DefaultPtrTraitsEiEENS_6detail16IndexBoundsCheckILm5EiEESD_Lm5ESE_iEENS8_INS9_ISB_SC_Lm4ESE_iEESI_SC_Lm5ESE_iEESJ_PSD_iiiiiiiii.num_named_barrier, 0
	.set _ZN2at6native12_GLOBAL__N_128conv_depthwise3d_cuda_kernelIN3c108BFloat16EfLin1ELin1ELin1ELi1ELi1ELi1EEEvN5torch10headeronly6detail27GenericPackedTensorAccessorINS7_14TensorAccessorINS3_8ArrayRefIlEEKT_Lm4ENS6_16DefaultPtrTraitsEiEENS_6detail16IndexBoundsCheckILm5EiEESD_Lm5ESE_iEENS8_INS9_ISB_SC_Lm4ESE_iEESI_SC_Lm5ESE_iEESJ_PSD_iiiiiiiii.private_seg_size, 0
	.set _ZN2at6native12_GLOBAL__N_128conv_depthwise3d_cuda_kernelIN3c108BFloat16EfLin1ELin1ELin1ELi1ELi1ELi1EEEvN5torch10headeronly6detail27GenericPackedTensorAccessorINS7_14TensorAccessorINS3_8ArrayRefIlEEKT_Lm4ENS6_16DefaultPtrTraitsEiEENS_6detail16IndexBoundsCheckILm5EiEESD_Lm5ESE_iEENS8_INS9_ISB_SC_Lm4ESE_iEESI_SC_Lm5ESE_iEESJ_PSD_iiiiiiiii.uses_vcc, 1
	.set _ZN2at6native12_GLOBAL__N_128conv_depthwise3d_cuda_kernelIN3c108BFloat16EfLin1ELin1ELin1ELi1ELi1ELi1EEEvN5torch10headeronly6detail27GenericPackedTensorAccessorINS7_14TensorAccessorINS3_8ArrayRefIlEEKT_Lm4ENS6_16DefaultPtrTraitsEiEENS_6detail16IndexBoundsCheckILm5EiEESD_Lm5ESE_iEENS8_INS9_ISB_SC_Lm4ESE_iEESI_SC_Lm5ESE_iEESJ_PSD_iiiiiiiii.uses_flat_scratch, 0
	.set _ZN2at6native12_GLOBAL__N_128conv_depthwise3d_cuda_kernelIN3c108BFloat16EfLin1ELin1ELin1ELi1ELi1ELi1EEEvN5torch10headeronly6detail27GenericPackedTensorAccessorINS7_14TensorAccessorINS3_8ArrayRefIlEEKT_Lm4ENS6_16DefaultPtrTraitsEiEENS_6detail16IndexBoundsCheckILm5EiEESD_Lm5ESE_iEENS8_INS9_ISB_SC_Lm4ESE_iEESI_SC_Lm5ESE_iEESJ_PSD_iiiiiiiii.has_dyn_sized_stack, 0
	.set _ZN2at6native12_GLOBAL__N_128conv_depthwise3d_cuda_kernelIN3c108BFloat16EfLin1ELin1ELin1ELi1ELi1ELi1EEEvN5torch10headeronly6detail27GenericPackedTensorAccessorINS7_14TensorAccessorINS3_8ArrayRefIlEEKT_Lm4ENS6_16DefaultPtrTraitsEiEENS_6detail16IndexBoundsCheckILm5EiEESD_Lm5ESE_iEENS8_INS9_ISB_SC_Lm4ESE_iEESI_SC_Lm5ESE_iEESJ_PSD_iiiiiiiii.has_recursion, 0
	.set _ZN2at6native12_GLOBAL__N_128conv_depthwise3d_cuda_kernelIN3c108BFloat16EfLin1ELin1ELin1ELi1ELi1ELi1EEEvN5torch10headeronly6detail27GenericPackedTensorAccessorINS7_14TensorAccessorINS3_8ArrayRefIlEEKT_Lm4ENS6_16DefaultPtrTraitsEiEENS_6detail16IndexBoundsCheckILm5EiEESD_Lm5ESE_iEENS8_INS9_ISB_SC_Lm4ESE_iEESI_SC_Lm5ESE_iEESJ_PSD_iiiiiiiii.has_indirect_call, 0
	.section	.AMDGPU.csdata,"",@progbits
; Kernel info:
; codeLenInByte = 1844
; TotalNumSgprs: 82
; NumVgprs: 25
; ScratchSize: 0
; MemoryBound: 0
; FloatMode: 240
; IeeeMode: 1
; LDSByteSize: 0 bytes/workgroup (compile time only)
; SGPRBlocks: 10
; VGPRBlocks: 6
; NumSGPRsForWavesPerEU: 82
; NumVGPRsForWavesPerEU: 25
; Occupancy: 9
; WaveLimiterHint : 0
; COMPUTE_PGM_RSRC2:SCRATCH_EN: 0
; COMPUTE_PGM_RSRC2:USER_SGPR: 6
; COMPUTE_PGM_RSRC2:TRAP_HANDLER: 0
; COMPUTE_PGM_RSRC2:TGID_X_EN: 1
; COMPUTE_PGM_RSRC2:TGID_Y_EN: 0
; COMPUTE_PGM_RSRC2:TGID_Z_EN: 0
; COMPUTE_PGM_RSRC2:TIDIG_COMP_CNT: 0
	.section	.text._ZN2at6native12_GLOBAL__N_128conv_depthwise3d_cuda_kernelIN3c108BFloat16EfLin1ELin1ELin1ELin1ELin1ELin1EEEvN5torch10headeronly6detail27GenericPackedTensorAccessorINS7_14TensorAccessorINS3_8ArrayRefIlEEKT_Lm4ENS6_16DefaultPtrTraitsEiEENS_6detail16IndexBoundsCheckILm5EiEESD_Lm5ESE_iEENS8_INS9_ISB_SC_Lm4ESE_iEESI_SC_Lm5ESE_iEESJ_PSD_iiiiiiiii,"axG",@progbits,_ZN2at6native12_GLOBAL__N_128conv_depthwise3d_cuda_kernelIN3c108BFloat16EfLin1ELin1ELin1ELin1ELin1ELin1EEEvN5torch10headeronly6detail27GenericPackedTensorAccessorINS7_14TensorAccessorINS3_8ArrayRefIlEEKT_Lm4ENS6_16DefaultPtrTraitsEiEENS_6detail16IndexBoundsCheckILm5EiEESD_Lm5ESE_iEENS8_INS9_ISB_SC_Lm4ESE_iEESI_SC_Lm5ESE_iEESJ_PSD_iiiiiiiii,comdat
	.globl	_ZN2at6native12_GLOBAL__N_128conv_depthwise3d_cuda_kernelIN3c108BFloat16EfLin1ELin1ELin1ELin1ELin1ELin1EEEvN5torch10headeronly6detail27GenericPackedTensorAccessorINS7_14TensorAccessorINS3_8ArrayRefIlEEKT_Lm4ENS6_16DefaultPtrTraitsEiEENS_6detail16IndexBoundsCheckILm5EiEESD_Lm5ESE_iEENS8_INS9_ISB_SC_Lm4ESE_iEESI_SC_Lm5ESE_iEESJ_PSD_iiiiiiiii ; -- Begin function _ZN2at6native12_GLOBAL__N_128conv_depthwise3d_cuda_kernelIN3c108BFloat16EfLin1ELin1ELin1ELin1ELin1ELin1EEEvN5torch10headeronly6detail27GenericPackedTensorAccessorINS7_14TensorAccessorINS3_8ArrayRefIlEEKT_Lm4ENS6_16DefaultPtrTraitsEiEENS_6detail16IndexBoundsCheckILm5EiEESD_Lm5ESE_iEENS8_INS9_ISB_SC_Lm4ESE_iEESI_SC_Lm5ESE_iEESJ_PSD_iiiiiiiii
	.p2align	8
	.type	_ZN2at6native12_GLOBAL__N_128conv_depthwise3d_cuda_kernelIN3c108BFloat16EfLin1ELin1ELin1ELin1ELin1ELin1EEEvN5torch10headeronly6detail27GenericPackedTensorAccessorINS7_14TensorAccessorINS3_8ArrayRefIlEEKT_Lm4ENS6_16DefaultPtrTraitsEiEENS_6detail16IndexBoundsCheckILm5EiEESD_Lm5ESE_iEENS8_INS9_ISB_SC_Lm4ESE_iEESI_SC_Lm5ESE_iEESJ_PSD_iiiiiiiii,@function
_ZN2at6native12_GLOBAL__N_128conv_depthwise3d_cuda_kernelIN3c108BFloat16EfLin1ELin1ELin1ELin1ELin1ELin1EEEvN5torch10headeronly6detail27GenericPackedTensorAccessorINS7_14TensorAccessorINS3_8ArrayRefIlEEKT_Lm4ENS6_16DefaultPtrTraitsEiEENS_6detail16IndexBoundsCheckILm5EiEESD_Lm5ESE_iEENS8_INS9_ISB_SC_Lm4ESE_iEESI_SC_Lm5ESE_iEESJ_PSD_iiiiiiiii: ; @_ZN2at6native12_GLOBAL__N_128conv_depthwise3d_cuda_kernelIN3c108BFloat16EfLin1ELin1ELin1ELin1ELin1ELin1EEEvN5torch10headeronly6detail27GenericPackedTensorAccessorINS7_14TensorAccessorINS3_8ArrayRefIlEEKT_Lm4ENS6_16DefaultPtrTraitsEiEENS_6detail16IndexBoundsCheckILm5EiEESD_Lm5ESE_iEENS8_INS9_ISB_SC_Lm4ESE_iEESI_SC_Lm5ESE_iEESJ_PSD_iiiiiiiii
; %bb.0:
	s_load_dwordx4 s[16:19], s[4:5], 0xc
	s_load_dwordx4 s[20:23], s[4:5], 0x38
	s_load_dwordx2 s[34:35], s[4:5], 0x48
	s_load_dword s1, s[4:5], 0xcc
	v_mov_b32_e32 v1, 0
	v_mov_b32_e32 v3, s6
	s_waitcnt lgkmcnt(0)
	s_abs_i32 s0, s16
	v_cvt_f32_u32_e32 v2, s0
	s_add_u32 s2, s4, 0xc0
	s_addc_u32 s3, s5, 0
	s_and_b32 s36, s1, 0xffff
	v_rcp_iflag_f32_e32 v2, v2
	v_mad_u64_u32 v[0:1], s[6:7], s36, v3, v[0:1]
	s_mul_i32 s6, s35, s20
	v_mul_f32_e32 v2, 0x4f7ffffe, v2
	v_cvt_u32_f32_e32 v2, v2
	s_ashr_i32 s7, s6, 31
	v_cmp_gt_i64_e32 vcc, s[6:7], v[0:1]
	v_readfirstlane_b32 s1, v2
	s_and_saveexec_b64 s[8:9], vcc
	s_cbranch_execz .LBB11_17
; %bb.1:
	s_sub_i32 s8, 0, s0
	s_mul_i32 s8, s8, s1
	s_mul_hi_u32 s8, s1, s8
	s_ashr_i32 s28, s16, 31
	s_abs_i32 s16, s21
	s_add_i32 s1, s1, s8
	s_ashr_i32 s20, s21, 31
	s_mul_hi_u32 s1, s16, s1
	s_load_dwordx2 s[40:41], s[4:5], 0x90
	s_load_dwordx8 s[8:15], s[4:5], 0x98
	s_load_dword s42, s[4:5], 0xb8
	s_load_dwordx4 s[24:27], s[4:5], 0x70
	s_waitcnt lgkmcnt(0)
	s_xor_b32 s27, s20, s28
	s_mul_i32 s28, s1, s0
	s_sub_i32 s28, s16, s28
	s_add_i32 s29, s1, 1
	s_sub_i32 s30, s28, s0
	s_cmp_ge_u32 s28, s0
	s_cselect_b32 s1, s29, s1
	s_cselect_b32 s28, s30, s28
	s_add_i32 s29, s1, 1
	s_cmp_ge_u32 s28, s0
	s_cselect_b32 s0, s29, s1
	s_xor_b32 s0, s0, s27
	s_sub_i32 s37, s0, s27
	s_cmp_gt_i32 s24, 0
	s_cselect_b64 s[44:45], -1, 0
	s_cmp_gt_i32 s25, 0
	s_cselect_b64 s[46:47], -1, 0
	s_cmp_gt_i32 s26, 0
	s_mul_i32 s28, s18, s14
	s_mul_i32 s29, s25, s15
	s_cselect_b64 s[48:49], -1, 0
	s_mul_i32 s0, s19, s15
	s_mul_i32 s1, s26, s42
	s_sub_i32 s28, s28, s29
	s_sub_i32 s0, s0, s1
	s_mul_i32 s38, s28, s19
	s_ashr_i32 s43, s42, 31
	s_ashr_i32 s1, s0, 31
	;; [unrolled: 1-line block ×3, first 2 shown]
	s_cmp_lg_u64 s[40:41], 0
	s_cselect_b64 s[50:51], -1, 0
	s_abs_i32 s33, s34
	v_cvt_f32_u32_e32 v2, s33
	s_abs_i32 s68, s23
	v_cvt_f32_u32_e32 v3, s68
	s_load_dword s2, s[2:3], 0x0
	s_nop 0
	s_load_dwordx2 s[52:53], s[4:5], 0x0
	s_load_dwordx4 s[28:31], s[4:5], 0x1c
	v_rcp_iflag_f32_e32 v2, v2
	s_abs_i32 s71, s22
	v_rcp_iflag_f32_e32 v3, v3
	s_waitcnt lgkmcnt(0)
	s_mul_i32 s70, s2, s36
	v_mul_f32_e32 v2, 0x4f7ffffe, v2
	v_cvt_u32_f32_e32 v2, v2
	s_sub_i32 s2, 0, s33
	v_mul_f32_e32 v3, 0x4f7ffffe, v3
	v_cvt_f32_u32_e32 v5, s71
	v_mul_lo_u32 v4, s2, v2
	v_cvt_u32_f32_e32 v3, v3
	s_sub_i32 s2, 0, s68
	v_rcp_iflag_f32_e32 v5, v5
	v_mul_hi_u32 v4, v2, v4
	v_mul_lo_u32 v6, s2, v3
	s_abs_i32 s73, s37
	s_sub_i32 s2, 0, s71
	v_add_u32_e32 v8, v2, v4
	v_mul_f32_e32 v4, 0x4f7ffffe, v5
	v_cvt_f32_u32_e32 v5, s16
	v_mul_hi_u32 v2, v3, v6
	v_cvt_f32_u32_e32 v6, s73
	v_cvt_u32_f32_e32 v4, v4
	v_rcp_iflag_f32_e32 v5, v5
	s_load_dword s27, s[4:5], 0x7c
	v_rcp_iflag_f32_e32 v6, v6
	v_mul_lo_u32 v7, s2, v4
	v_mul_f32_e32 v5, 0x4f7ffffe, v5
	v_cvt_u32_f32_e32 v5, v5
	v_mul_f32_e32 v6, 0x4f7ffffe, v6
	v_cvt_u32_f32_e32 v6, v6
	s_sub_i32 s2, 0, s16
	v_mul_lo_u32 v10, s2, v5
	s_sub_i32 s2, 0, s73
	v_mul_lo_u32 v11, s2, v6
	s_load_dword s69, s[4:5], 0x2c
	s_load_dwordx2 s[54:55], s[4:5], 0x30
	v_add_u32_e32 v9, v3, v2
	v_mul_hi_u32 v2, v4, v7
	v_mul_hi_u32 v3, v5, v10
	;; [unrolled: 1-line block ×3, first 2 shown]
	s_ashr_i32 s76, s37, 31
	s_lshl_b64 s[58:59], s[38:39], 1
	s_load_dwordx2 s[60:61], s[4:5], 0x60
	s_load_dwordx4 s[36:39], s[4:5], 0x50
	s_ashr_i32 s72, s34, 31
	s_ashr_i32 s74, s23, 31
	;; [unrolled: 1-line block ×3, first 2 shown]
	v_add_u32_e32 v10, v4, v2
	v_add_u32_e32 v11, v5, v3
	;; [unrolled: 1-line block ×3, first 2 shown]
	s_lshl_b64 s[56:57], s[0:1], 1
	s_movk_i32 s77, 0x7fff
	v_mov_b32_e32 v13, 0x7fc0
	s_mov_b64 s[62:63], 0
	s_lshl_b64 s[64:65], s[42:43], 1
	s_branch .LBB11_3
.LBB11_2:                               ;   in Loop: Header=BB11_3 Depth=1
	v_bfe_u32 v3, v21, 16, 1
	v_add3_u32 v4, v21, v3, s77
	v_mul_lo_u32 v3, v17, s35
	v_cmp_o_f32_e32 vcc, v21, v21
	v_cndmask_b32_sdwa v6, v13, v4, vcc dst_sel:DWORD dst_unused:UNUSED_PAD src0_sel:DWORD src1_sel:WORD_1
	s_waitcnt lgkmcnt(0)
	v_mul_lo_u32 v2, s36, v2
	v_ashrrev_i32_e32 v4, 31, v3
	v_lshlrev_b64 v[3:4], 1, v[3:4]
	v_mov_b32_e32 v5, s55
	v_add_co_u32_e32 v7, vcc, s54, v3
	v_addc_co_u32_e32 v5, vcc, v5, v4, vcc
	v_ashrrev_i32_e32 v3, 31, v2
	v_mul_lo_u32 v4, s37, v16
	v_lshlrev_b64 v[2:3], 1, v[2:3]
	v_add_co_u32_e32 v7, vcc, v7, v2
	v_addc_co_u32_e32 v16, vcc, v5, v3, vcc
	v_ashrrev_i32_e32 v5, 31, v4
	v_lshlrev_b64 v[2:3], 1, v[4:5]
	v_mul_lo_u32 v4, s38, v15
	v_add_co_u32_e32 v7, vcc, v7, v2
	v_addc_co_u32_e32 v15, vcc, v16, v3, vcc
	v_ashrrev_i32_e32 v5, 31, v4
	v_lshlrev_b64 v[2:3], 1, v[4:5]
	v_mul_lo_u32 v4, s39, v14
	v_add_co_u32_e32 v7, vcc, v7, v2
	v_addc_co_u32_e32 v14, vcc, v15, v3, vcc
	v_ashrrev_i32_e32 v5, 31, v4
	v_add_co_u32_e32 v0, vcc, s70, v0
	v_lshlrev_b64 v[2:3], 1, v[4:5]
	v_addc_co_u32_e32 v1, vcc, 0, v1, vcc
	v_cmp_le_i64_e32 vcc, s[6:7], v[0:1]
	v_add_co_u32_e64 v2, s[0:1], v7, v2
	v_addc_co_u32_e64 v3, s[0:1], v14, v3, s[0:1]
	s_or_b64 s[62:63], vcc, s[62:63]
	global_store_short v[2:3], v6, off
	s_andn2_b64 exec, exec, s[62:63]
	s_cbranch_execz .LBB11_17
.LBB11_3:                               ; =>This Loop Header: Depth=1
                                        ;     Child Loop BB11_6 Depth 2
                                        ;       Child Loop BB11_9 Depth 3
                                        ;         Child Loop BB11_12 Depth 4
	v_sub_u32_e32 v2, 0, v0
	v_max_i32_e32 v2, v0, v2
	v_mul_hi_u32 v3, v2, v8
	v_ashrrev_i32_e32 v5, 31, v0
	v_xor_b32_e32 v5, s72, v5
	v_mul_lo_u32 v4, v3, s33
	v_add_u32_e32 v6, 1, v3
	v_sub_u32_e32 v2, v2, v4
	v_cmp_le_u32_e32 vcc, s33, v2
	v_subrev_u32_e32 v4, s33, v2
	v_cndmask_b32_e32 v3, v3, v6, vcc
	v_cndmask_b32_e32 v2, v2, v4, vcc
	v_add_u32_e32 v4, 1, v3
	v_cmp_le_u32_e32 vcc, s33, v2
	v_cndmask_b32_e32 v2, v3, v4, vcc
	v_xor_b32_e32 v2, v2, v5
	v_sub_u32_e32 v2, v2, v5
	v_sub_u32_e32 v3, 0, v2
	v_max_i32_e32 v3, v2, v3
	v_mul_hi_u32 v4, v3, v9
	v_ashrrev_i32_e32 v6, 31, v2
	v_xor_b32_e32 v6, s74, v6
	v_mul_lo_u32 v5, v4, s68
	v_add_u32_e32 v7, 1, v4
	v_sub_u32_e32 v3, v3, v5
	v_cmp_le_u32_e32 vcc, s68, v3
	v_subrev_u32_e32 v5, s68, v3
	v_cndmask_b32_e32 v4, v4, v7, vcc
	v_cndmask_b32_e32 v3, v3, v5, vcc
	v_add_u32_e32 v5, 1, v4
	v_cmp_le_u32_e32 vcc, s68, v3
	v_cndmask_b32_e32 v3, v4, v5, vcc
	v_xor_b32_e32 v3, v3, v6
	v_sub_u32_e32 v3, v3, v6
	v_sub_u32_e32 v4, 0, v3
	v_max_i32_e32 v4, v3, v4
	v_mul_hi_u32 v5, v4, v10
	v_ashrrev_i32_e32 v7, 31, v3
	v_xor_b32_e32 v7, s75, v7
	v_mul_lo_u32 v15, v3, s23
	v_mul_lo_u32 v6, v5, s71
	v_add_u32_e32 v14, 1, v5
	v_sub_u32_e32 v15, v2, v15
	v_sub_u32_e32 v4, v4, v6
	v_cmp_le_u32_e32 vcc, s71, v4
	v_subrev_u32_e32 v6, s71, v4
	v_cndmask_b32_e32 v5, v5, v14, vcc
	v_cndmask_b32_e32 v4, v4, v6, vcc
	v_add_u32_e32 v6, 1, v5
	v_cmp_le_u32_e32 vcc, s71, v4
	v_cndmask_b32_e32 v4, v5, v6, vcc
	v_xor_b32_e32 v4, v4, v7
	v_sub_u32_e32 v4, v4, v7
	v_sub_u32_e32 v5, 0, v4
	v_max_i32_e32 v5, v4, v5
	v_mul_hi_u32 v6, v5, v11
	v_ashrrev_i32_e32 v17, 31, v4
	v_xor_b32_e32 v17, s20, v17
	v_mul_lo_u32 v7, v2, s34
	v_mul_lo_u32 v14, v6, s16
	;; [unrolled: 1-line block ×3, first 2 shown]
	v_sub_u32_e32 v5, v5, v14
	v_add_u32_e32 v14, 1, v6
	v_cmp_le_u32_e32 vcc, s16, v5
	v_cndmask_b32_e32 v6, v6, v14, vcc
	v_subrev_u32_e32 v14, s16, v5
	v_cndmask_b32_e32 v5, v5, v14, vcc
	v_add_u32_e32 v14, 1, v6
	v_cmp_le_u32_e32 vcc, s16, v5
	v_cndmask_b32_e32 v5, v6, v14, vcc
	v_xor_b32_e32 v5, v5, v17
	v_sub_u32_e32 v17, v5, v17
	v_mul_lo_u32 v5, v17, s21
	v_sub_u32_e32 v14, v0, v7
	v_sub_u32_e32 v16, v3, v16
	s_andn2_b64 vcc, exec, s[44:45]
	v_sub_u32_e32 v2, v4, v5
	v_ashrrev_i32_e32 v3, 31, v2
	s_cbranch_vccnz .LBB11_14
; %bb.4:                                ;   in Loop: Header=BB11_3 Depth=1
	v_mul_lo_u32 v5, v14, s10
	v_mul_lo_u32 v6, v15, s9
	v_mul_lo_u32 v4, s28, v17
	v_xor_b32_e32 v23, s76, v3
	v_subrev_u32_e32 v18, s13, v5
	v_sub_u32_e32 v5, 0, v2
	v_max_i32_e32 v21, v2, v5
	v_mul_hi_u32 v22, v21, v12
	v_subrev_u32_e32 v19, s12, v6
	v_mul_lo_u32 v7, v16, s8
	v_ashrrev_i32_e32 v5, 31, v4
	v_mul_lo_u32 v6, v22, s73
	v_lshlrev_b64 v[4:5], 1, v[4:5]
	v_subrev_u32_e32 v20, s11, v7
	v_mov_b32_e32 v7, s53
	v_sub_u32_e32 v6, v21, v6
	v_add_u32_e32 v21, 1, v22
	v_cmp_le_u32_e32 vcc, s73, v6
	v_cndmask_b32_e32 v21, v22, v21, vcc
	v_subrev_u32_e32 v22, s73, v6
	v_cndmask_b32_e32 v6, v6, v22, vcc
	v_add_u32_e32 v22, 1, v21
	v_cmp_le_u32_e32 vcc, s73, v6
	v_cndmask_b32_e32 v6, v21, v22, vcc
	v_xor_b32_e32 v6, v6, v23
	v_sub_u32_e32 v6, v6, v23
	v_mul_lo_u32 v6, s29, v6
	v_add_co_u32_e32 v21, vcc, s52, v4
	v_addc_co_u32_e32 v22, vcc, v7, v5, vcc
	v_ashrrev_i32_e32 v7, 31, v6
	v_lshlrev_b64 v[4:5], 1, v[6:7]
	v_mul_lo_u32 v6, s30, v20
	v_add_co_u32_e32 v21, vcc, v21, v4
	v_addc_co_u32_e32 v22, vcc, v22, v5, vcc
	v_ashrrev_i32_e32 v7, 31, v6
	v_lshlrev_b64 v[4:5], 1, v[6:7]
	;; [unrolled: 5-line block ×3, first 2 shown]
	s_waitcnt lgkmcnt(0)
	v_mul_lo_u32 v6, s69, v18
	v_add_co_u32_e32 v21, vcc, v21, v4
	v_addc_co_u32_e32 v22, vcc, v22, v5, vcc
	v_ashrrev_i32_e32 v7, 31, v6
	v_lshlrev_b64 v[4:5], 1, v[6:7]
	v_mul_lo_u32 v6, s27, v2
	v_add_co_u32_e32 v4, vcc, v21, v4
	v_addc_co_u32_e32 v5, vcc, v22, v5, vcc
	v_ashrrev_i32_e32 v7, 31, v6
	v_lshlrev_b64 v[6:7], 1, v[6:7]
	v_mov_b32_e32 v21, s61
	v_add_co_u32_e32 v6, vcc, s60, v6
	s_mov_b32 s43, 0
	v_addc_co_u32_e32 v7, vcc, v21, v7, vcc
	v_mov_b32_e32 v21, 0
	s_branch .LBB11_6
.LBB11_5:                               ;   in Loop: Header=BB11_6 Depth=2
	v_mov_b32_e32 v22, s59
	s_add_i32 s43, s43, 1
	v_add_co_u32_e32 v4, vcc, s58, v4
	s_cmp_eq_u32 s43, s24
	v_addc_co_u32_e32 v5, vcc, v5, v22, vcc
	s_cbranch_scc1 .LBB11_15
.LBB11_6:                               ;   Parent Loop BB11_3 Depth=1
                                        ; =>  This Loop Header: Depth=2
                                        ;       Child Loop BB11_9 Depth 3
                                        ;         Child Loop BB11_12 Depth 4
	s_andn2_b64 vcc, exec, s[46:47]
	s_cbranch_vccnz .LBB11_5
; %bb.7:                                ;   in Loop: Header=BB11_6 Depth=2
	s_mul_i32 s0, s43, s14
	v_add_u32_e32 v22, s0, v20
	v_cmp_lt_i32_e64 s[0:1], -1, v22
	v_cmp_gt_i32_e64 s[2:3], s17, v22
	s_mov_b32 s78, 0
	s_branch .LBB11_9
.LBB11_8:                               ;   in Loop: Header=BB11_9 Depth=3
	v_mov_b32_e32 v22, s57
	s_add_i32 s78, s78, 1
	v_add_co_u32_e32 v4, vcc, s56, v4
	s_cmp_eq_u32 s78, s25
	v_addc_co_u32_e32 v5, vcc, v5, v22, vcc
	s_cbranch_scc1 .LBB11_5
.LBB11_9:                               ;   Parent Loop BB11_3 Depth=1
                                        ;     Parent Loop BB11_6 Depth=2
                                        ; =>    This Loop Header: Depth=3
                                        ;         Child Loop BB11_12 Depth 4
	s_andn2_b64 vcc, exec, s[48:49]
	s_cbranch_vccnz .LBB11_8
; %bb.10:                               ;   in Loop: Header=BB11_9 Depth=3
	s_mul_i32 s4, s78, s15
	v_add_u32_e32 v22, s4, v19
	v_cmp_lt_i32_e32 vcc, -1, v22
	s_and_b64 s[66:67], s[0:1], vcc
	v_cmp_gt_i32_e32 vcc, s18, v22
	v_mov_b32_e32 v22, v18
	s_mov_b32 s79, s26
	s_branch .LBB11_12
.LBB11_11:                              ;   in Loop: Header=BB11_12 Depth=4
	s_or_b64 exec, exec, s[4:5]
	v_add_co_u32_e64 v6, s[4:5], 2, v6
	v_addc_co_u32_e64 v7, s[4:5], 0, v7, s[4:5]
	s_add_i32 s79, s79, -1
	v_mov_b32_e32 v23, s65
	v_add_co_u32_e64 v4, s[4:5], s64, v4
	v_add_u32_e32 v22, s42, v22
	s_cmp_eq_u32 s79, 0
	v_addc_co_u32_e64 v5, s[4:5], v5, v23, s[4:5]
	s_cbranch_scc1 .LBB11_8
.LBB11_12:                              ;   Parent Loop BB11_3 Depth=1
                                        ;     Parent Loop BB11_6 Depth=2
                                        ;       Parent Loop BB11_9 Depth=3
                                        ; =>      This Inner Loop Header: Depth=4
	v_cmp_lt_i32_e64 s[4:5], -1, v22
	s_and_b64 s[4:5], s[66:67], s[4:5]
	s_and_b64 s[4:5], s[4:5], s[2:3]
	s_and_b64 s[80:81], s[4:5], vcc
	v_cmp_gt_i32_e64 s[4:5], s19, v22
	s_and_b64 s[80:81], s[80:81], s[4:5]
	s_and_saveexec_b64 s[4:5], s[80:81]
	s_cbranch_execz .LBB11_11
; %bb.13:                               ;   in Loop: Header=BB11_12 Depth=4
	global_load_ushort v23, v[4:5], off
	global_load_ushort v24, v[6:7], off
	s_waitcnt vmcnt(1)
	v_lshlrev_b32_e32 v23, 16, v23
	s_waitcnt vmcnt(0)
	v_lshlrev_b32_e32 v24, 16, v24
	v_fmac_f32_e32 v21, v24, v23
	s_branch .LBB11_11
.LBB11_14:                              ;   in Loop: Header=BB11_3 Depth=1
	v_mov_b32_e32 v21, 0
.LBB11_15:                              ;   in Loop: Header=BB11_3 Depth=1
	s_and_b64 vcc, exec, s[50:51]
	s_cbranch_vccz .LBB11_2
; %bb.16:                               ;   in Loop: Header=BB11_3 Depth=1
	v_lshlrev_b64 v[3:4], 1, v[2:3]
	v_mov_b32_e32 v5, s41
	v_add_co_u32_e32 v3, vcc, s40, v3
	v_addc_co_u32_e32 v4, vcc, v5, v4, vcc
	global_load_ushort v3, v[3:4], off
	s_waitcnt vmcnt(0)
	v_lshlrev_b32_e32 v3, 16, v3
	v_add_f32_e32 v21, v21, v3
	s_branch .LBB11_2
.LBB11_17:
	s_endpgm
	.section	.rodata,"a",@progbits
	.p2align	6, 0x0
	.amdhsa_kernel _ZN2at6native12_GLOBAL__N_128conv_depthwise3d_cuda_kernelIN3c108BFloat16EfLin1ELin1ELin1ELin1ELin1ELin1EEEvN5torch10headeronly6detail27GenericPackedTensorAccessorINS7_14TensorAccessorINS3_8ArrayRefIlEEKT_Lm4ENS6_16DefaultPtrTraitsEiEENS_6detail16IndexBoundsCheckILm5EiEESD_Lm5ESE_iEENS8_INS9_ISB_SC_Lm4ESE_iEESI_SC_Lm5ESE_iEESJ_PSD_iiiiiiiii
		.amdhsa_group_segment_fixed_size 0
		.amdhsa_private_segment_fixed_size 0
		.amdhsa_kernarg_size 448
		.amdhsa_user_sgpr_count 6
		.amdhsa_user_sgpr_private_segment_buffer 1
		.amdhsa_user_sgpr_dispatch_ptr 0
		.amdhsa_user_sgpr_queue_ptr 0
		.amdhsa_user_sgpr_kernarg_segment_ptr 1
		.amdhsa_user_sgpr_dispatch_id 0
		.amdhsa_user_sgpr_flat_scratch_init 0
		.amdhsa_user_sgpr_private_segment_size 0
		.amdhsa_uses_dynamic_stack 0
		.amdhsa_system_sgpr_private_segment_wavefront_offset 0
		.amdhsa_system_sgpr_workgroup_id_x 1
		.amdhsa_system_sgpr_workgroup_id_y 0
		.amdhsa_system_sgpr_workgroup_id_z 0
		.amdhsa_system_sgpr_workgroup_info 0
		.amdhsa_system_vgpr_workitem_id 0
		.amdhsa_next_free_vgpr 25
		.amdhsa_next_free_sgpr 82
		.amdhsa_reserve_vcc 1
		.amdhsa_reserve_flat_scratch 0
		.amdhsa_float_round_mode_32 0
		.amdhsa_float_round_mode_16_64 0
		.amdhsa_float_denorm_mode_32 3
		.amdhsa_float_denorm_mode_16_64 3
		.amdhsa_dx10_clamp 1
		.amdhsa_ieee_mode 1
		.amdhsa_fp16_overflow 0
		.amdhsa_exception_fp_ieee_invalid_op 0
		.amdhsa_exception_fp_denorm_src 0
		.amdhsa_exception_fp_ieee_div_zero 0
		.amdhsa_exception_fp_ieee_overflow 0
		.amdhsa_exception_fp_ieee_underflow 0
		.amdhsa_exception_fp_ieee_inexact 0
		.amdhsa_exception_int_div_zero 0
	.end_amdhsa_kernel
	.section	.text._ZN2at6native12_GLOBAL__N_128conv_depthwise3d_cuda_kernelIN3c108BFloat16EfLin1ELin1ELin1ELin1ELin1ELin1EEEvN5torch10headeronly6detail27GenericPackedTensorAccessorINS7_14TensorAccessorINS3_8ArrayRefIlEEKT_Lm4ENS6_16DefaultPtrTraitsEiEENS_6detail16IndexBoundsCheckILm5EiEESD_Lm5ESE_iEENS8_INS9_ISB_SC_Lm4ESE_iEESI_SC_Lm5ESE_iEESJ_PSD_iiiiiiiii,"axG",@progbits,_ZN2at6native12_GLOBAL__N_128conv_depthwise3d_cuda_kernelIN3c108BFloat16EfLin1ELin1ELin1ELin1ELin1ELin1EEEvN5torch10headeronly6detail27GenericPackedTensorAccessorINS7_14TensorAccessorINS3_8ArrayRefIlEEKT_Lm4ENS6_16DefaultPtrTraitsEiEENS_6detail16IndexBoundsCheckILm5EiEESD_Lm5ESE_iEENS8_INS9_ISB_SC_Lm4ESE_iEESI_SC_Lm5ESE_iEESJ_PSD_iiiiiiiii,comdat
.Lfunc_end11:
	.size	_ZN2at6native12_GLOBAL__N_128conv_depthwise3d_cuda_kernelIN3c108BFloat16EfLin1ELin1ELin1ELin1ELin1ELin1EEEvN5torch10headeronly6detail27GenericPackedTensorAccessorINS7_14TensorAccessorINS3_8ArrayRefIlEEKT_Lm4ENS6_16DefaultPtrTraitsEiEENS_6detail16IndexBoundsCheckILm5EiEESD_Lm5ESE_iEENS8_INS9_ISB_SC_Lm4ESE_iEESI_SC_Lm5ESE_iEESJ_PSD_iiiiiiiii, .Lfunc_end11-_ZN2at6native12_GLOBAL__N_128conv_depthwise3d_cuda_kernelIN3c108BFloat16EfLin1ELin1ELin1ELin1ELin1ELin1EEEvN5torch10headeronly6detail27GenericPackedTensorAccessorINS7_14TensorAccessorINS3_8ArrayRefIlEEKT_Lm4ENS6_16DefaultPtrTraitsEiEENS_6detail16IndexBoundsCheckILm5EiEESD_Lm5ESE_iEENS8_INS9_ISB_SC_Lm4ESE_iEESI_SC_Lm5ESE_iEESJ_PSD_iiiiiiiii
                                        ; -- End function
	.set _ZN2at6native12_GLOBAL__N_128conv_depthwise3d_cuda_kernelIN3c108BFloat16EfLin1ELin1ELin1ELin1ELin1ELin1EEEvN5torch10headeronly6detail27GenericPackedTensorAccessorINS7_14TensorAccessorINS3_8ArrayRefIlEEKT_Lm4ENS6_16DefaultPtrTraitsEiEENS_6detail16IndexBoundsCheckILm5EiEESD_Lm5ESE_iEENS8_INS9_ISB_SC_Lm4ESE_iEESI_SC_Lm5ESE_iEESJ_PSD_iiiiiiiii.num_vgpr, 25
	.set _ZN2at6native12_GLOBAL__N_128conv_depthwise3d_cuda_kernelIN3c108BFloat16EfLin1ELin1ELin1ELin1ELin1ELin1EEEvN5torch10headeronly6detail27GenericPackedTensorAccessorINS7_14TensorAccessorINS3_8ArrayRefIlEEKT_Lm4ENS6_16DefaultPtrTraitsEiEENS_6detail16IndexBoundsCheckILm5EiEESD_Lm5ESE_iEENS8_INS9_ISB_SC_Lm4ESE_iEESI_SC_Lm5ESE_iEESJ_PSD_iiiiiiiii.num_agpr, 0
	.set _ZN2at6native12_GLOBAL__N_128conv_depthwise3d_cuda_kernelIN3c108BFloat16EfLin1ELin1ELin1ELin1ELin1ELin1EEEvN5torch10headeronly6detail27GenericPackedTensorAccessorINS7_14TensorAccessorINS3_8ArrayRefIlEEKT_Lm4ENS6_16DefaultPtrTraitsEiEENS_6detail16IndexBoundsCheckILm5EiEESD_Lm5ESE_iEENS8_INS9_ISB_SC_Lm4ESE_iEESI_SC_Lm5ESE_iEESJ_PSD_iiiiiiiii.numbered_sgpr, 82
	.set _ZN2at6native12_GLOBAL__N_128conv_depthwise3d_cuda_kernelIN3c108BFloat16EfLin1ELin1ELin1ELin1ELin1ELin1EEEvN5torch10headeronly6detail27GenericPackedTensorAccessorINS7_14TensorAccessorINS3_8ArrayRefIlEEKT_Lm4ENS6_16DefaultPtrTraitsEiEENS_6detail16IndexBoundsCheckILm5EiEESD_Lm5ESE_iEENS8_INS9_ISB_SC_Lm4ESE_iEESI_SC_Lm5ESE_iEESJ_PSD_iiiiiiiii.num_named_barrier, 0
	.set _ZN2at6native12_GLOBAL__N_128conv_depthwise3d_cuda_kernelIN3c108BFloat16EfLin1ELin1ELin1ELin1ELin1ELin1EEEvN5torch10headeronly6detail27GenericPackedTensorAccessorINS7_14TensorAccessorINS3_8ArrayRefIlEEKT_Lm4ENS6_16DefaultPtrTraitsEiEENS_6detail16IndexBoundsCheckILm5EiEESD_Lm5ESE_iEENS8_INS9_ISB_SC_Lm4ESE_iEESI_SC_Lm5ESE_iEESJ_PSD_iiiiiiiii.private_seg_size, 0
	.set _ZN2at6native12_GLOBAL__N_128conv_depthwise3d_cuda_kernelIN3c108BFloat16EfLin1ELin1ELin1ELin1ELin1ELin1EEEvN5torch10headeronly6detail27GenericPackedTensorAccessorINS7_14TensorAccessorINS3_8ArrayRefIlEEKT_Lm4ENS6_16DefaultPtrTraitsEiEENS_6detail16IndexBoundsCheckILm5EiEESD_Lm5ESE_iEENS8_INS9_ISB_SC_Lm4ESE_iEESI_SC_Lm5ESE_iEESJ_PSD_iiiiiiiii.uses_vcc, 1
	.set _ZN2at6native12_GLOBAL__N_128conv_depthwise3d_cuda_kernelIN3c108BFloat16EfLin1ELin1ELin1ELin1ELin1ELin1EEEvN5torch10headeronly6detail27GenericPackedTensorAccessorINS7_14TensorAccessorINS3_8ArrayRefIlEEKT_Lm4ENS6_16DefaultPtrTraitsEiEENS_6detail16IndexBoundsCheckILm5EiEESD_Lm5ESE_iEENS8_INS9_ISB_SC_Lm4ESE_iEESI_SC_Lm5ESE_iEESJ_PSD_iiiiiiiii.uses_flat_scratch, 0
	.set _ZN2at6native12_GLOBAL__N_128conv_depthwise3d_cuda_kernelIN3c108BFloat16EfLin1ELin1ELin1ELin1ELin1ELin1EEEvN5torch10headeronly6detail27GenericPackedTensorAccessorINS7_14TensorAccessorINS3_8ArrayRefIlEEKT_Lm4ENS6_16DefaultPtrTraitsEiEENS_6detail16IndexBoundsCheckILm5EiEESD_Lm5ESE_iEENS8_INS9_ISB_SC_Lm4ESE_iEESI_SC_Lm5ESE_iEESJ_PSD_iiiiiiiii.has_dyn_sized_stack, 0
	.set _ZN2at6native12_GLOBAL__N_128conv_depthwise3d_cuda_kernelIN3c108BFloat16EfLin1ELin1ELin1ELin1ELin1ELin1EEEvN5torch10headeronly6detail27GenericPackedTensorAccessorINS7_14TensorAccessorINS3_8ArrayRefIlEEKT_Lm4ENS6_16DefaultPtrTraitsEiEENS_6detail16IndexBoundsCheckILm5EiEESD_Lm5ESE_iEENS8_INS9_ISB_SC_Lm4ESE_iEESI_SC_Lm5ESE_iEESJ_PSD_iiiiiiiii.has_recursion, 0
	.set _ZN2at6native12_GLOBAL__N_128conv_depthwise3d_cuda_kernelIN3c108BFloat16EfLin1ELin1ELin1ELin1ELin1ELin1EEEvN5torch10headeronly6detail27GenericPackedTensorAccessorINS7_14TensorAccessorINS3_8ArrayRefIlEEKT_Lm4ENS6_16DefaultPtrTraitsEiEENS_6detail16IndexBoundsCheckILm5EiEESD_Lm5ESE_iEENS8_INS9_ISB_SC_Lm4ESE_iEESI_SC_Lm5ESE_iEESJ_PSD_iiiiiiiii.has_indirect_call, 0
	.section	.AMDGPU.csdata,"",@progbits
; Kernel info:
; codeLenInByte = 1876
; TotalNumSgprs: 86
; NumVgprs: 25
; ScratchSize: 0
; MemoryBound: 0
; FloatMode: 240
; IeeeMode: 1
; LDSByteSize: 0 bytes/workgroup (compile time only)
; SGPRBlocks: 10
; VGPRBlocks: 6
; NumSGPRsForWavesPerEU: 86
; NumVGPRsForWavesPerEU: 25
; Occupancy: 9
; WaveLimiterHint : 0
; COMPUTE_PGM_RSRC2:SCRATCH_EN: 0
; COMPUTE_PGM_RSRC2:USER_SGPR: 6
; COMPUTE_PGM_RSRC2:TRAP_HANDLER: 0
; COMPUTE_PGM_RSRC2:TGID_X_EN: 1
; COMPUTE_PGM_RSRC2:TGID_Y_EN: 0
; COMPUTE_PGM_RSRC2:TGID_Z_EN: 0
; COMPUTE_PGM_RSRC2:TIDIG_COMP_CNT: 0
	.section	.text._ZN2at6native12_GLOBAL__N_143conv_depthwise3d_cuda_backward_input_kernelIddLi3ELi3ELi3ELi1ELi1ELi1ELi1ELi1ELi1EEEvN5torch10headeronly6detail27GenericPackedTensorAccessorINS5_14TensorAccessorIN3c108ArrayRefIlEEKT_Lm4ENS4_16DefaultPtrTraitsEiEENS_6detail16IndexBoundsCheckILm5EiEESC_Lm5ESD_iEENS6_INS7_ISA_SB_Lm4ESD_iEESH_SB_Lm5ESD_iEESI_iiiiiiiii,"axG",@progbits,_ZN2at6native12_GLOBAL__N_143conv_depthwise3d_cuda_backward_input_kernelIddLi3ELi3ELi3ELi1ELi1ELi1ELi1ELi1ELi1EEEvN5torch10headeronly6detail27GenericPackedTensorAccessorINS5_14TensorAccessorIN3c108ArrayRefIlEEKT_Lm4ENS4_16DefaultPtrTraitsEiEENS_6detail16IndexBoundsCheckILm5EiEESC_Lm5ESD_iEENS6_INS7_ISA_SB_Lm4ESD_iEESH_SB_Lm5ESD_iEESI_iiiiiiiii,comdat
	.globl	_ZN2at6native12_GLOBAL__N_143conv_depthwise3d_cuda_backward_input_kernelIddLi3ELi3ELi3ELi1ELi1ELi1ELi1ELi1ELi1EEEvN5torch10headeronly6detail27GenericPackedTensorAccessorINS5_14TensorAccessorIN3c108ArrayRefIlEEKT_Lm4ENS4_16DefaultPtrTraitsEiEENS_6detail16IndexBoundsCheckILm5EiEESC_Lm5ESD_iEENS6_INS7_ISA_SB_Lm4ESD_iEESH_SB_Lm5ESD_iEESI_iiiiiiiii ; -- Begin function _ZN2at6native12_GLOBAL__N_143conv_depthwise3d_cuda_backward_input_kernelIddLi3ELi3ELi3ELi1ELi1ELi1ELi1ELi1ELi1EEEvN5torch10headeronly6detail27GenericPackedTensorAccessorINS5_14TensorAccessorIN3c108ArrayRefIlEEKT_Lm4ENS4_16DefaultPtrTraitsEiEENS_6detail16IndexBoundsCheckILm5EiEESC_Lm5ESD_iEENS6_INS7_ISA_SB_Lm4ESD_iEESH_SB_Lm5ESD_iEESI_iiiiiiiii
	.p2align	8
	.type	_ZN2at6native12_GLOBAL__N_143conv_depthwise3d_cuda_backward_input_kernelIddLi3ELi3ELi3ELi1ELi1ELi1ELi1ELi1ELi1EEEvN5torch10headeronly6detail27GenericPackedTensorAccessorINS5_14TensorAccessorIN3c108ArrayRefIlEEKT_Lm4ENS4_16DefaultPtrTraitsEiEENS_6detail16IndexBoundsCheckILm5EiEESC_Lm5ESD_iEENS6_INS7_ISA_SB_Lm4ESD_iEESH_SB_Lm5ESD_iEESI_iiiiiiiii,@function
_ZN2at6native12_GLOBAL__N_143conv_depthwise3d_cuda_backward_input_kernelIddLi3ELi3ELi3ELi1ELi1ELi1ELi1ELi1ELi1EEEvN5torch10headeronly6detail27GenericPackedTensorAccessorINS5_14TensorAccessorIN3c108ArrayRefIlEEKT_Lm4ENS4_16DefaultPtrTraitsEiEENS_6detail16IndexBoundsCheckILm5EiEESC_Lm5ESD_iEENS6_INS7_ISA_SB_Lm4ESD_iEESH_SB_Lm5ESD_iEESI_iiiiiiiii: ; @_ZN2at6native12_GLOBAL__N_143conv_depthwise3d_cuda_backward_input_kernelIddLi3ELi3ELi3ELi1ELi1ELi1ELi1ELi1ELi1EEEvN5torch10headeronly6detail27GenericPackedTensorAccessorINS5_14TensorAccessorIN3c108ArrayRefIlEEKT_Lm4ENS4_16DefaultPtrTraitsEiEENS_6detail16IndexBoundsCheckILm5EiEESC_Lm5ESD_iEENS6_INS7_ISA_SB_Lm4ESD_iEESH_SB_Lm5ESD_iEESI_iiiiiiiii
; %bb.0:
	s_load_dwordx4 s[36:39], s[4:5], 0x38
	s_load_dwordx2 s[34:35], s[4:5], 0x48
	s_mov_b64 s[98:99], s[2:3]
	s_mov_b64 s[96:97], s[0:1]
	s_add_u32 s96, s96, s7
	s_addc_u32 s97, s97, 0
	s_waitcnt lgkmcnt(0)
	s_abs_i32 s33, s37
	v_cvt_f32_u32_e32 v2, s33
	s_load_dword s2, s[4:5], 0xc4
	s_add_u32 s0, s4, 0xb8
	v_mov_b32_e32 v1, 0
	v_rcp_iflag_f32_e32 v2, v2
	v_mov_b32_e32 v3, s6
	s_addc_u32 s1, s5, 0
	s_waitcnt lgkmcnt(0)
	s_and_b32 s2, s2, 0xffff
	v_mul_f32_e32 v2, 0x4f7ffffe, v2
	v_mad_u64_u32 v[9:10], s[6:7], s2, v3, v[0:1]
	v_cvt_u32_f32_e32 v0, v2
	s_mul_i32 s6, s35, s36
	s_ashr_i32 s7, s6, 31
                                        ; implicit-def: $vgpr63 : SGPR spill to VGPR lane
	v_writelane_b32 v63, s6, 0
	v_cmp_gt_i64_e32 vcc, s[6:7], v[9:10]
	v_writelane_b32 v63, s7, 1
	v_readfirstlane_b32 s3, v0
	s_and_saveexec_b64 s[6:7], vcc
	s_cbranch_execz .LBB12_62
; %bb.1:
	s_load_dwordx4 s[40:43], s[4:5], 0xc
	s_load_dwordx2 s[6:7], s[4:5], 0x0
	s_sub_i32 s8, 0, s33
	s_mul_i32 s9, s8, s3
	s_mul_hi_u32 s9, s3, s9
	s_add_i32 s3, s3, s9
	s_waitcnt lgkmcnt(0)
	v_writelane_b32 v63, s6, 2
	v_writelane_b32 v63, s7, 3
	s_abs_i32 s7, s40
	s_mul_hi_u32 s3, s7, s3
	s_mul_i32 s9, s3, s33
	s_ashr_i32 s10, s37, 31
	s_ashr_i32 s6, s40, 31
	s_sub_i32 s7, s7, s9
	v_writelane_b32 v63, s10, 4
	s_xor_b32 s6, s6, s10
	s_add_i32 s9, s3, 1
	s_sub_i32 s10, s7, s33
	s_cmp_ge_u32 s7, s33
	s_cselect_b32 s3, s9, s3
	s_cselect_b32 s7, s10, s7
	s_add_i32 s9, s3, 1
	s_cmp_ge_u32 s7, s33
	s_cselect_b32 s3, s9, s3
	s_xor_b32 s3, s3, s6
	s_sub_i32 s40, s3, s6
	s_cmp_gt_i32 s40, 0
	s_cselect_b64 s[6:7], -1, 0
	s_abs_i32 s36, s34
	v_cvt_f32_u32_e32 v1, s36
	s_load_dword s0, s[0:1], 0x0
	s_nop 0
	s_load_dwordx4 s[44:47], s[4:5], 0x9c
	s_load_dword s1, s[4:5], 0x7c
	s_load_dwordx2 s[10:11], s[4:5], 0x60
	s_load_dwordx4 s[48:51], s[4:5], 0x50
	v_rcp_iflag_f32_e32 v1, v1
	s_waitcnt lgkmcnt(0)
	s_mul_i32 s0, s0, s2
	v_writelane_b32 v63, s1, 5
	v_writelane_b32 v63, s10, 6
	v_mul_f32_e32 v1, 0x4f7ffffe, v1
	v_cvt_u32_f32_e32 v1, v1
	v_writelane_b32 v63, s11, 7
	v_writelane_b32 v63, s0, 8
	s_sub_i32 s0, 0, s36
	v_mul_lo_u32 v2, s0, v1
	s_abs_i32 s47, s39
	v_cvt_f32_u32_e32 v3, s47
	s_abs_i32 s60, s38
	v_cvt_f32_u32_e32 v4, s60
	v_mul_hi_u32 v2, v1, v2
	v_rcp_iflag_f32_e32 v3, v3
	s_load_dwordx2 s[56:57], s[4:5], 0x1c
	s_load_dwordx2 s[58:59], s[4:5], 0x30
	v_rcp_iflag_f32_e32 v4, v4
	v_add_u32_e32 v1, v1, v2
	buffer_store_dword v1, off, s[96:99], 0 offset:480 ; 4-byte Folded Spill
	v_mul_f32_e32 v1, 0x4f7ffffe, v3
	v_cvt_u32_f32_e32 v1, v1
	v_mul_f32_e32 v2, 0x4f7ffffe, v4
	v_cvt_u32_f32_e32 v2, v2
	v_mul_lo_u32 v5, s8, v0
	s_ashr_i32 s0, s34, 31
	v_writelane_b32 v63, s0, 9
	s_sub_i32 s0, 0, s47
	v_mul_lo_u32 v3, s0, v1
	s_sub_i32 s0, 0, s60
	v_mul_lo_u32 v4, s0, v2
	v_mul_hi_u32 v5, v0, v5
	v_mul_hi_u32 v3, v1, v3
	s_ashr_i32 s0, s39, 31
	v_mul_hi_u32 v4, v2, v4
	v_add_u32_e32 v0, v0, v5
	buffer_store_dword v0, off, s[96:99], 0 offset:492 ; 4-byte Folded Spill
	v_cndmask_b32_e64 v0, 0, 1, s[6:7]
	v_writelane_b32 v63, s0, 10
	v_cmp_ne_u32_e64 s[0:1], 1, v0
	v_add_u32_e32 v1, v1, v3
	v_writelane_b32 v63, s0, 11
	buffer_store_dword v1, off, s[96:99], 0 offset:484 ; 4-byte Folded Spill
	s_ashr_i32 s61, s38, 31
	v_add_u32_e32 v1, v2, v4
	s_mov_b64 s[62:63], 0
	v_writelane_b32 v63, s1, 12
                                        ; kill: killed $sgpr4 killed $sgpr5
	buffer_store_dword v1, off, s[96:99], 0 offset:488 ; 4-byte Folded Spill
	s_branch .LBB12_4
.LBB12_2:                               ;   in Loop: Header=BB12_4 Depth=1
	s_or_b64 exec, exec, s[88:89]
	buffer_load_dword v9, off, s[96:99], 0 offset:452 ; 4-byte Folded Reload
	buffer_load_dword v10, off, s[96:99], 0 offset:456 ; 4-byte Folded Reload
	;; [unrolled: 1-line block ×7, first 2 shown]
.LBB12_3:                               ;   in Loop: Header=BB12_4 Depth=1
	s_waitcnt vmcnt(1)
	v_mul_lo_u32 v0, v20, s35
	s_waitcnt vmcnt(0)
	v_mul_lo_u32 v2, s48, v59
	s_waitcnt lgkmcnt(0)
	v_mov_b32_e32 v3, s59
	v_readlane_b32 s0, v63, 8
	v_ashrrev_i32_e32 v1, 31, v0
	v_lshlrev_b64 v[0:1], 3, v[0:1]
	v_add_co_u32_e32 v4, vcc, s58, v0
	v_addc_co_u32_e32 v5, vcc, v3, v1, vcc
	v_ashrrev_i32_e32 v3, 31, v2
	v_lshlrev_b64 v[0:1], 3, v[2:3]
	v_mul_lo_u32 v2, s49, v7
	v_add_co_u32_e32 v4, vcc, v4, v0
	v_addc_co_u32_e32 v5, vcc, v5, v1, vcc
	v_ashrrev_i32_e32 v3, 31, v2
	v_lshlrev_b64 v[0:1], 3, v[2:3]
	v_mul_lo_u32 v2, s50, v6
	;; [unrolled: 5-line block ×3, first 2 shown]
	v_add_co_u32_e32 v4, vcc, v4, v0
	v_addc_co_u32_e32 v5, vcc, v5, v1, vcc
	v_ashrrev_i32_e32 v3, 31, v2
	v_add_co_u32_e32 v9, vcc, s0, v9
	v_readlane_b32 s0, v63, 0
	v_lshlrev_b64 v[0:1], 3, v[2:3]
	v_addc_co_u32_e32 v10, vcc, 0, v10, vcc
	v_readlane_b32 s1, v63, 1
	v_cmp_le_i64_e32 vcc, s[0:1], v[9:10]
	v_add_co_u32_e64 v0, s[2:3], v4, v0
	v_addc_co_u32_e64 v1, s[2:3], v5, v1, s[2:3]
	s_or_b64 s[62:63], vcc, s[62:63]
	global_store_dwordx2 v[0:1], v[12:13], off
	s_andn2_b64 exec, exec, s[62:63]
	s_cbranch_execz .LBB12_62
.LBB12_4:                               ; =>This Loop Header: Depth=1
                                        ;     Child Loop BB12_7 Depth 2
	buffer_load_dword v1, off, s[96:99], 0 offset:480 ; 4-byte Folded Reload
	v_sub_u32_e32 v0, 0, v9
	v_max_i32_e32 v0, v9, v0
	v_ashrrev_i32_e32 v3, 31, v9
	v_readlane_b32 s0, v63, 9
	v_xor_b32_e32 v3, s0, v3
	v_readlane_b32 s0, v63, 10
	s_waitcnt vmcnt(0)
	v_mul_hi_u32 v1, v0, v1
	v_mul_lo_u32 v2, v1, s36
	v_add_u32_e32 v4, 1, v1
	v_sub_u32_e32 v0, v0, v2
	v_cmp_le_u32_e32 vcc, s36, v0
	v_subrev_u32_e32 v2, s36, v0
	v_cndmask_b32_e32 v1, v1, v4, vcc
	v_cndmask_b32_e32 v0, v0, v2, vcc
	v_add_u32_e32 v2, 1, v1
	v_cmp_le_u32_e32 vcc, s36, v0
	v_cndmask_b32_e32 v0, v1, v2, vcc
	buffer_load_dword v2, off, s[96:99], 0 offset:484 ; 4-byte Folded Reload
	v_xor_b32_e32 v0, v0, v3
	v_sub_u32_e32 v0, v0, v3
	v_sub_u32_e32 v1, 0, v0
	v_max_i32_e32 v1, v0, v1
	v_ashrrev_i32_e32 v4, 31, v0
	v_xor_b32_e32 v4, s0, v4
	v_readlane_b32 s0, v63, 4
	s_waitcnt vmcnt(0)
	v_mul_hi_u32 v2, v1, v2
	v_mul_lo_u32 v3, v2, s47
	v_add_u32_e32 v5, 1, v2
	v_sub_u32_e32 v1, v1, v3
	v_cmp_le_u32_e32 vcc, s47, v1
	v_subrev_u32_e32 v3, s47, v1
	v_cndmask_b32_e32 v2, v2, v5, vcc
	v_cndmask_b32_e32 v1, v1, v3, vcc
	v_add_u32_e32 v3, 1, v2
	v_cmp_le_u32_e32 vcc, s47, v1
	v_cndmask_b32_e32 v1, v2, v3, vcc
	buffer_load_dword v3, off, s[96:99], 0 offset:488 ; 4-byte Folded Reload
	v_xor_b32_e32 v1, v1, v4
	v_sub_u32_e32 v1, v1, v4
	v_sub_u32_e32 v2, 0, v1
	v_max_i32_e32 v2, v1, v2
	v_ashrrev_i32_e32 v6, 31, v1
	v_xor_b32_e32 v6, s61, v6
	v_mul_lo_u32 v4, v0, s34
	v_sub_u32_e32 v11, v9, v4
	v_mul_lo_u32 v4, v1, s39
	s_waitcnt vmcnt(0)
	v_mul_hi_u32 v3, v2, v3
	v_mul_lo_u32 v5, v3, s60
	v_add_u32_e32 v7, 1, v3
	v_sub_u32_e32 v2, v2, v5
	v_cmp_le_u32_e32 vcc, s60, v2
	v_subrev_u32_e32 v5, s60, v2
	v_cndmask_b32_e32 v3, v3, v7, vcc
	v_cndmask_b32_e32 v2, v2, v5, vcc
	v_add_u32_e32 v5, 1, v3
	v_cmp_le_u32_e32 vcc, s60, v2
	v_cndmask_b32_e32 v2, v3, v5, vcc
	buffer_load_dword v5, off, s[96:99], 0 offset:492 ; 4-byte Folded Reload
	v_xor_b32_e32 v2, v2, v6
	v_sub_u32_e32 v2, v2, v6
	v_sub_u32_e32 v3, 0, v2
	v_max_i32_e32 v3, v2, v3
	v_ashrrev_i32_e32 v8, 31, v2
	v_xor_b32_e32 v8, s0, v8
	v_mul_lo_u32 v7, v2, s38
	v_readlane_b32 s0, v63, 11
	v_readlane_b32 s1, v63, 12
	v_sub_u32_e32 v7, v1, v7
	s_waitcnt vmcnt(0)
	v_mul_hi_u32 v5, v3, v5
	v_mul_lo_u32 v6, v5, s33
	v_sub_u32_e32 v3, v3, v6
	v_add_u32_e32 v6, 1, v5
	v_cmp_le_u32_e32 vcc, s33, v3
	v_cndmask_b32_e32 v5, v5, v6, vcc
	v_subrev_u32_e32 v6, s33, v3
	v_cndmask_b32_e32 v3, v3, v6, vcc
	v_add_u32_e32 v6, 1, v5
	v_cmp_le_u32_e32 vcc, s33, v3
	v_cndmask_b32_e32 v3, v5, v6, vcc
	v_xor_b32_e32 v3, v3, v8
	v_sub_u32_e32 v20, v3, v8
	v_mul_lo_u32 v3, v20, s37
	v_sub_u32_e32 v6, v0, v4
	s_and_b64 vcc, exec, s[0:1]
	v_sub_u32_e32 v59, v2, v3
	s_cbranch_vccnz .LBB12_61
; %bb.5:                                ;   in Loop: Header=BB12_4 Depth=1
	buffer_store_dword v9, off, s[96:99], 0 offset:452 ; 4-byte Folded Spill
	s_nop 0
	buffer_store_dword v10, off, s[96:99], 0 offset:456 ; 4-byte Folded Spill
	buffer_store_dword v7, off, s[96:99], 0 offset:468 ; 4-byte Folded Spill
	v_add_u32_e32 v1, s45, v6
	v_add_u32_e32 v22, s46, v11
	;; [unrolled: 1-line block ×3, first 2 shown]
	v_or_b32_e32 v9, v22, v1
	v_add_u32_e32 v23, -1, v22
	buffer_store_dword v11, off, s[96:99], 0 offset:460 ; 4-byte Folded Spill
	v_or_b32_e32 v0, v9, v4
	v_or_b32_e32 v11, v23, v1
	v_add_u32_e32 v24, -2, v22
	v_add_u32_e32 v7, -1, v1
	v_cmp_lt_i32_e32 vcc, -1, v0
	v_or_b32_e32 v0, v11, v4
	v_or_b32_e32 v13, v24, v1
	;; [unrolled: 1-line block ×3, first 2 shown]
	v_cmp_lt_i32_e64 s[2:3], -1, v0
	v_or_b32_e32 v0, v13, v4
	v_or_b32_e32 v10, v23, v7
	v_cmp_lt_i32_e64 s[4:5], -1, v0
	v_or_b32_e32 v0, v8, v4
	v_add_u32_e32 v5, -2, v1
	v_or_b32_e32 v12, v24, v7
	v_cmp_lt_i32_e64 s[6:7], -1, v0
	v_or_b32_e32 v0, v10, v4
	v_cmp_gt_i32_e64 s[24:25], s42, v1
	v_cmp_gt_i32_e64 s[26:27], s43, v22
	v_cmp_gt_i32_e64 s[28:29], s43, v23
	v_cmp_gt_i32_e64 s[30:31], s43, v24
	buffer_store_dword v6, off, s[96:99], 0 offset:464 ; 4-byte Folded Spill
	v_or_b32_e32 v6, v22, v5
	v_cmp_lt_i32_e64 s[8:9], -1, v0
	v_or_b32_e32 v0, v12, v4
	s_and_b64 s[86:87], s[26:27], s[24:25]
	s_and_b64 s[84:85], s[28:29], s[24:25]
	s_and_b64 s[54:55], s[30:31], s[24:25]
	v_cmp_gt_i32_e64 s[24:25], s42, v7
	v_cmp_lt_i32_e64 s[10:11], -1, v0
	v_or_b32_e32 v0, v6, v4
	v_or_b32_e32 v14, v23, v5
	s_and_b64 s[52:53], s[26:27], s[24:25]
	s_and_b64 s[0:1], s[28:29], s[24:25]
	;; [unrolled: 1-line block ×3, first 2 shown]
	v_cmp_gt_i32_e64 s[24:25], s42, v5
	v_cmp_lt_i32_e64 s[12:13], -1, v0
	v_or_b32_e32 v0, v14, v4
	v_or_b32_e32 v15, v24, v5
	s_and_b64 s[92:93], s[26:27], s[24:25]
	s_and_b64 s[90:91], s[28:29], s[24:25]
	s_and_b64 s[88:89], s[30:31], s[24:25]
	v_cmp_gt_i32_e64 s[24:25], s41, v4
	s_and_b64 s[2:3], s[84:85], s[2:3]
	v_cmp_lt_i32_e64 s[14:15], -1, v0
	v_or_b32_e32 v0, v15, v4
	s_and_b64 s[28:29], s[2:3], s[24:25]
	s_and_b64 s[2:3], s[54:55], s[4:5]
	v_cmp_lt_i32_e64 s[16:17], -1, v0
	v_add_u32_e32 v0, -1, v4
	s_and_b64 s[30:31], s[2:3], s[24:25]
	s_and_b64 s[2:3], s[52:53], s[6:7]
	v_or_b32_e32 v2, v9, v0
	s_and_b64 s[64:65], s[2:3], s[24:25]
	s_and_b64 s[2:3], s[0:1], s[8:9]
	v_cmp_lt_i32_e64 s[18:19], -1, v2
	v_or_b32_e32 v2, v11, v0
	s_and_b64 s[66:67], s[2:3], s[24:25]
	s_and_b64 s[2:3], s[94:95], s[10:11]
	v_cmp_lt_i32_e64 s[20:21], -1, v2
	;; [unrolled: 4-line block ×3, first 2 shown]
	s_and_b64 s[70:71], s[2:3], s[24:25]
	s_and_b64 s[2:3], s[90:91], s[14:15]
	v_or_b32_e32 v2, v8, v0
	v_cmp_gt_i32_e64 s[4:5], s41, v0
	s_and_b64 s[6:7], s[86:87], s[18:19]
	s_and_b64 s[26:27], s[86:87], vcc
	s_and_b64 s[72:73], s[2:3], s[24:25]
	s_and_b64 s[2:3], s[88:89], s[16:17]
	v_cmp_lt_i32_e32 vcc, -1, v2
	v_or_b32_e32 v2, v10, v0
	s_and_b64 s[18:19], s[6:7], s[4:5]
	s_and_b64 s[6:7], s[84:85], s[20:21]
	;; [unrolled: 1-line block ×3, first 2 shown]
	v_or_b32_e32 v3, v12, v0
	v_cmp_lt_i32_e64 s[2:3], -1, v2
	s_and_b64 s[20:21], s[6:7], s[4:5]
	s_and_b64 s[6:7], s[54:55], s[22:23]
	v_or_b32_e32 v2, v6, v0
	s_and_b64 s[22:23], s[6:7], s[4:5]
	s_and_b64 s[6:7], s[52:53], vcc
	s_and_b64 s[2:3], s[0:1], s[2:3]
	v_cmp_lt_i32_e32 vcc, -1, v3
	v_or_b32_e32 v16, v14, v0
	s_and_b64 s[74:75], s[2:3], s[4:5]
	s_and_b64 s[2:3], s[94:95], vcc
	v_cmp_lt_i32_e32 vcc, -1, v2
	v_or_b32_e32 v0, v15, v0
	s_and_b64 s[76:77], s[2:3], s[4:5]
	s_and_b64 s[2:3], s[92:93], vcc
	v_cmp_lt_i32_e32 vcc, -1, v16
	v_mul_lo_u32 v42, v59, s40
	s_and_b64 s[78:79], s[2:3], s[4:5]
	s_and_b64 s[2:3], s[90:91], vcc
	v_cmp_lt_i32_e32 vcc, -1, v0
	s_and_b64 s[80:81], s[2:3], s[4:5]
	s_and_b64 s[2:3], s[88:89], vcc
	s_and_b64 s[82:83], s[2:3], s[4:5]
	v_readlane_b32 s2, v63, 5
	v_mul_lo_u32 v2, s2, v42
	s_waitcnt lgkmcnt(0)
	v_mul_lo_u32 v16, s56, v20
	s_and_b64 s[26:27], s[26:27], s[24:25]
	s_and_b64 s[24:25], s[6:7], s[4:5]
	v_ashrrev_i32_e32 v3, 31, v2
	v_readlane_b32 s4, v63, 6
	v_lshlrev_b64 v[2:3], 3, v[2:3]
	v_readlane_b32 s5, v63, 7
	v_mul_lo_u32 v18, v4, s42
	v_mov_b32_e32 v17, s5
	v_add_co_u32_e32 v2, vcc, s4, v2
	v_addc_co_u32_e32 v3, vcc, v17, v3, vcc
	v_ashrrev_i32_e32 v17, 31, v16
	v_readlane_b32 s2, v63, 2
	v_lshlrev_b64 v[16:17], 3, v[16:17]
	v_readlane_b32 s3, v63, 3
	v_add_u32_e32 v0, v1, v18
	buffer_store_dword v20, off, s[96:99], 0 offset:472 ; 4-byte Folded Spill
	v_mov_b32_e32 v20, s3
	v_add_co_u32_e32 v16, vcc, s2, v16
	v_mul_lo_u32 v19, v0, s43
	buffer_store_dword v16, off, s[96:99], 0 offset:224 ; 4-byte Folded Spill
	v_addc_co_u32_e32 v16, vcc, v20, v17, vcc
	buffer_store_dword v16, off, s[96:99], 0 offset:228 ; 4-byte Folded Spill
	v_add_u32_e32 v16, -2, v4
	v_or_b32_e32 v17, v9, v16
	v_or_b32_e32 v27, v13, v16
	;; [unrolled: 1-line block ×3, first 2 shown]
	v_cmp_lt_i32_e64 s[10:11], -1, v17
	v_subrev_u32_e32 v17, s42, v18
	v_add_u32_e32 v0, v22, v19
	s_and_b64 s[14:15], s[86:87], s[10:11]
	v_cmp_lt_i32_e64 s[10:11], -1, v13
	v_subrev_u32_e32 v13, s42, v17
	v_add_u32_e32 v12, v1, v17
	v_add_u32_e32 v41, v1, v13
	v_ashrrev_i32_e32 v1, 31, v0
	v_lshlrev_b64 v[0:1], 3, v[0:1]
	v_add_u32_e32 v21, v7, v18
	v_or_b32_e32 v9, v6, v16
	v_add_u32_e32 v6, v23, v19
	v_or_b32_e32 v20, v11, v16
	v_mul_lo_u32 v11, v21, s43
	v_or_b32_e32 v21, v8, v16
	v_add_u32_e32 v8, v5, v18
	v_add_u32_e32 v18, v7, v17
	;; [unrolled: 1-line block ×3, first 2 shown]
	v_ashrrev_i32_e32 v7, 31, v6
	buffer_store_dword v0, off, s[96:99], 0 offset:236 ; 4-byte Folded Spill
	s_nop 0
	buffer_store_dword v1, off, s[96:99], 0 offset:240 ; 4-byte Folded Spill
	v_lshlrev_b64 v[0:1], 3, v[6:7]
	v_or_b32_e32 v28, v10, v16
	v_or_b32_e32 v26, v14, v16
	;; [unrolled: 1-line block ×3, first 2 shown]
	v_cmp_gt_i32_e32 vcc, s41, v16
	v_add_u32_e32 v16, v24, v19
	v_cmp_lt_i32_e64 s[4:5], -1, v21
	v_add_u32_e32 v21, v5, v17
	v_ashrrev_i32_e32 v17, 31, v16
	buffer_store_dword v0, off, s[96:99], 0 offset:244 ; 4-byte Folded Spill
	s_nop 0
	buffer_store_dword v1, off, s[96:99], 0 offset:248 ; 4-byte Folded Spill
	v_lshlrev_b64 v[0:1], 3, v[16:17]
	v_add_u32_e32 v4, v22, v11
	v_add_u32_e32 v53, v5, v13
	v_ashrrev_i32_e32 v5, 31, v4
	buffer_store_dword v0, off, s[96:99], 0 offset:252 ; 4-byte Folded Spill
	s_nop 0
	buffer_store_dword v1, off, s[96:99], 0 offset:256 ; 4-byte Folded Spill
	v_lshlrev_b64 v[0:1], 3, v[4:5]
	v_mul_lo_u32 v15, v8, s43
	v_add_u32_e32 v8, v23, v11
	v_cmp_lt_i32_e64 s[8:9], -1, v20
	s_and_b64 s[86:87], s[84:85], s[8:9]
	v_cmp_lt_i32_e64 s[8:9], -1, v9
	v_ashrrev_i32_e32 v9, 31, v8
	buffer_store_dword v0, off, s[96:99], 0 offset:260 ; 4-byte Folded Spill
	s_nop 0
	buffer_store_dword v1, off, s[96:99], 0 offset:264 ; 4-byte Folded Spill
	v_lshlrev_b64 v[0:1], 3, v[8:9]
	v_cmp_lt_i32_e64 s[2:3], -1, v27
	v_add_u32_e32 v27, v24, v11
	v_cmp_lt_i32_e64 s[6:7], -1, v28
	v_ashrrev_i32_e32 v28, 31, v27
	buffer_store_dword v0, off, s[96:99], 0 offset:268 ; 4-byte Folded Spill
	s_nop 0
	buffer_store_dword v1, off, s[96:99], 0 offset:272 ; 4-byte Folded Spill
	v_lshlrev_b64 v[0:1], 3, v[27:28]
	v_add_u32_e32 v10, v22, v15
	v_ashrrev_i32_e32 v11, 31, v10
	buffer_store_dword v0, off, s[96:99], 0 offset:276 ; 4-byte Folded Spill
	s_nop 0
	buffer_store_dword v1, off, s[96:99], 0 offset:280 ; 4-byte Folded Spill
	v_lshlrev_b64 v[0:1], 3, v[10:11]
	v_mul_lo_u32 v30, v12, s43
	v_add_u32_e32 v12, v23, v15
	v_ashrrev_i32_e32 v13, 31, v12
	buffer_store_dword v0, off, s[96:99], 0 offset:284 ; 4-byte Folded Spill
	s_nop 0
	buffer_store_dword v1, off, s[96:99], 0 offset:288 ; 4-byte Folded Spill
	v_lshlrev_b64 v[0:1], 3, v[12:13]
	v_add_u32_e32 v29, v24, v15
	v_add_u32_e32 v14, v22, v30
	v_mul_lo_u32 v19, v18, s43
	v_add_u32_e32 v18, v23, v30
	v_add_u32_e32 v33, v24, v30
	v_ashrrev_i32_e32 v30, 31, v29
	buffer_store_dword v0, off, s[96:99], 0 offset:292 ; 4-byte Folded Spill
	s_nop 0
	buffer_store_dword v1, off, s[96:99], 0 offset:296 ; 4-byte Folded Spill
	v_lshlrev_b64 v[0:1], 3, v[29:30]
	v_ashrrev_i32_e32 v15, 31, v14
	buffer_store_dword v0, off, s[96:99], 0 offset:300 ; 4-byte Folded Spill
	s_nop 0
	buffer_store_dword v1, off, s[96:99], 0 offset:304 ; 4-byte Folded Spill
	v_lshlrev_b64 v[0:1], 3, v[14:15]
	v_add_u32_e32 v20, v22, v19
	v_add_u32_e32 v31, v23, v19
	;; [unrolled: 1-line block ×3, first 2 shown]
	v_ashrrev_i32_e32 v19, 31, v18
	buffer_store_dword v0, off, s[96:99], 0 offset:308 ; 4-byte Folded Spill
	s_nop 0
	buffer_store_dword v1, off, s[96:99], 0 offset:312 ; 4-byte Folded Spill
	v_lshlrev_b64 v[0:1], 3, v[18:19]
	v_ashrrev_i32_e32 v34, 31, v33
	buffer_store_dword v0, off, s[96:99], 0 offset:316 ; 4-byte Folded Spill
	s_nop 0
	buffer_store_dword v1, off, s[96:99], 0 offset:320 ; 4-byte Folded Spill
	v_lshlrev_b64 v[0:1], 3, v[33:34]
	v_mul_lo_u32 v43, v21, s43
	v_ashrrev_i32_e32 v21, 31, v20
	buffer_store_dword v0, off, s[96:99], 0 offset:324 ; 4-byte Folded Spill
	s_nop 0
	buffer_store_dword v1, off, s[96:99], 0 offset:328 ; 4-byte Folded Spill
	v_lshlrev_b64 v[0:1], 3, v[20:21]
	v_ashrrev_i32_e32 v32, 31, v31
	buffer_store_dword v0, off, s[96:99], 0 offset:332 ; 4-byte Folded Spill
	s_nop 0
	buffer_store_dword v1, off, s[96:99], 0 offset:336 ; 4-byte Folded Spill
	v_lshlrev_b64 v[0:1], 3, v[31:32]
	v_ashrrev_i32_e32 v38, 31, v37
	buffer_store_dword v0, off, s[96:99], 0 offset:340 ; 4-byte Folded Spill
	s_nop 0
	buffer_store_dword v1, off, s[96:99], 0 offset:344 ; 4-byte Folded Spill
	v_lshlrev_b64 v[0:1], 3, v[37:38]
	v_add_u32_e32 v35, v22, v43
	v_ashrrev_i32_e32 v36, 31, v35
	buffer_store_dword v0, off, s[96:99], 0 offset:348 ; 4-byte Folded Spill
	s_nop 0
	buffer_store_dword v1, off, s[96:99], 0 offset:352 ; 4-byte Folded Spill
	v_lshlrev_b64 v[0:1], 3, v[35:36]
	v_add_u32_e32 v39, v23, v43
	v_ashrrev_i32_e32 v40, 31, v39
	buffer_store_dword v0, off, s[96:99], 0 offset:356 ; 4-byte Folded Spill
	s_nop 0
	buffer_store_dword v1, off, s[96:99], 0 offset:360 ; 4-byte Folded Spill
	v_mul_lo_u32 v41, v41, s43
	v_lshlrev_b64 v[0:1], 3, v[39:40]
	v_add_u32_e32 v43, v24, v43
	v_ashrrev_i32_e32 v44, 31, v43
	buffer_store_dword v0, off, s[96:99], 0 offset:364 ; 4-byte Folded Spill
	s_nop 0
	buffer_store_dword v1, off, s[96:99], 0 offset:368 ; 4-byte Folded Spill
	v_lshlrev_b64 v[0:1], 3, v[43:44]
	s_and_b64 s[84:85], s[14:15], vcc
	v_cmp_lt_i32_e64 s[14:15], -1, v25
	v_add_u32_e32 v25, v22, v41
	v_cmp_lt_i32_e64 s[12:13], -1, v26
	v_ashrrev_i32_e32 v26, 31, v25
	buffer_store_dword v0, off, s[96:99], 0 offset:372 ; 4-byte Folded Spill
	s_nop 0
	buffer_store_dword v1, off, s[96:99], 0 offset:376 ; 4-byte Folded Spill
	v_lshlrev_b64 v[0:1], 3, v[25:26]
	v_add_u32_e32 v45, v23, v41
	v_ashrrev_i32_e32 v46, 31, v45
	buffer_store_dword v0, off, s[96:99], 0 offset:380 ; 4-byte Folded Spill
	s_nop 0
	buffer_store_dword v1, off, s[96:99], 0 offset:384 ; 4-byte Folded Spill
	v_mul_lo_u32 v54, v47, s43
	v_lshlrev_b64 v[0:1], 3, v[45:46]
	v_add_u32_e32 v47, v24, v41
	v_ashrrev_i32_e32 v48, 31, v47
	buffer_store_dword v0, off, s[96:99], 0 offset:388 ; 4-byte Folded Spill
	s_nop 0
	buffer_store_dword v1, off, s[96:99], 0 offset:392 ; 4-byte Folded Spill
	v_lshlrev_b64 v[0:1], 3, v[47:48]
	v_add_u32_e32 v49, v22, v54
	v_ashrrev_i32_e32 v50, 31, v49
	buffer_store_dword v0, off, s[96:99], 0 offset:396 ; 4-byte Folded Spill
	s_nop 0
	buffer_store_dword v1, off, s[96:99], 0 offset:400 ; 4-byte Folded Spill
	v_lshlrev_b64 v[0:1], 3, v[49:50]
	v_add_u32_e32 v51, v23, v54
	v_ashrrev_i32_e32 v52, 31, v51
	buffer_store_dword v0, off, s[96:99], 0 offset:404 ; 4-byte Folded Spill
	s_nop 0
	buffer_store_dword v1, off, s[96:99], 0 offset:408 ; 4-byte Folded Spill
	v_mul_lo_u32 v41, v53, s43
	v_lshlrev_b64 v[0:1], 3, v[51:52]
	v_add_u32_e32 v53, v24, v54
	v_ashrrev_i32_e32 v54, 31, v53
	buffer_store_dword v0, off, s[96:99], 0 offset:412 ; 4-byte Folded Spill
	s_nop 0
	buffer_store_dword v1, off, s[96:99], 0 offset:416 ; 4-byte Folded Spill
	v_lshlrev_b64 v[0:1], 3, v[53:54]
	v_add_u32_e32 v55, v22, v41
	v_ashrrev_i32_e32 v56, 31, v55
	buffer_store_dword v0, off, s[96:99], 0 offset:420 ; 4-byte Folded Spill
	s_nop 0
	buffer_store_dword v1, off, s[96:99], 0 offset:424 ; 4-byte Folded Spill
	s_and_b64 s[0:1], s[0:1], s[6:7]
	v_lshlrev_b64 v[0:1], 3, v[55:56]
	s_and_b64 s[6:7], s[0:1], vcc
	s_and_b64 s[0:1], s[94:95], s[10:11]
	v_add_u32_e32 v22, v23, v41
	s_and_b64 s[10:11], s[0:1], vcc
	s_and_b64 s[0:1], s[92:93], s[8:9]
	v_ashrrev_i32_e32 v23, 31, v22
	buffer_store_dword v0, off, s[96:99], 0 offset:428 ; 4-byte Folded Spill
	s_nop 0
	buffer_store_dword v1, off, s[96:99], 0 offset:432 ; 4-byte Folded Spill
	s_and_b64 s[8:9], s[0:1], vcc
	s_and_b64 s[0:1], s[90:91], s[12:13]
	v_lshlrev_b64 v[0:1], 3, v[22:23]
	s_and_b64 s[12:13], s[0:1], vcc
	s_and_b64 s[0:1], s[88:89], s[14:15]
	v_add_u32_e32 v57, v24, v41
	s_and_b64 s[14:15], s[0:1], vcc
	v_ashrrev_i32_e32 v58, 31, v57
	buffer_store_dword v0, off, s[96:99], 0 offset:436 ; 4-byte Folded Spill
	s_nop 0
	buffer_store_dword v1, off, s[96:99], 0 offset:440 ; 4-byte Folded Spill
	s_mul_i32 s0, s57, s40
	v_lshlrev_b64 v[0:1], 3, v[57:58]
	v_mul_lo_u32 v60, s0, v59
	s_and_b64 s[2:3], s[54:55], s[2:3]
	s_and_b64 s[4:5], s[52:53], s[4:5]
	buffer_store_dword v0, off, s[96:99], 0 offset:444 ; 4-byte Folded Spill
	s_nop 0
	buffer_store_dword v1, off, s[96:99], 0 offset:448 ; 4-byte Folded Spill
	v_mov_b32_e32 v12, 0
	s_and_b64 s[86:87], s[86:87], vcc
	s_and_b64 s[2:3], s[2:3], vcc
	s_and_b64 s[4:5], s[4:5], vcc
	s_mov_b64 s[88:89], 0
	v_add_u32_e32 v0, s40, v42
	v_mov_b32_e32 v13, 0
	buffer_store_dword v0, off, s[96:99], 0 offset:232 ; 4-byte Folded Spill
	buffer_store_dword v59, off, s[96:99], 0 offset:476 ; 4-byte Folded Spill
	s_branch .LBB12_7
.LBB12_6:                               ;   in Loop: Header=BB12_7 Depth=2
	s_or_b64 exec, exec, s[0:1]
	buffer_load_dword v61, off, s[96:99], 0 offset:88 ; 4-byte Folded Reload
	buffer_load_dword v62, off, s[96:99], 0 offset:92 ; 4-byte Folded Reload
	;; [unrolled: 1-line block ×4, first 2 shown]
	v_add_co_u32_e32 v2, vcc, 0xd8, v2
	v_addc_co_u32_e32 v3, vcc, 0, v3, vcc
	v_add_u32_e32 v42, 1, v42
	v_add_u32_e32 v60, s57, v60
	s_waitcnt vmcnt(0)
	v_fma_f64 v[61:62], v[6:7], v[48:49], v[61:62]
	buffer_load_dword v6, off, s[96:99], 0 offset:104 ; 4-byte Folded Reload
	buffer_load_dword v7, off, s[96:99], 0 offset:108 ; 4-byte Folded Reload
	;; [unrolled: 1-line block ×4, first 2 shown]
	s_waitcnt vmcnt(0)
	v_fma_f64 v[61:62], v[6:7], v[48:49], v[61:62]
	buffer_load_dword v6, off, s[96:99], 0  ; 4-byte Folded Reload
	buffer_load_dword v7, off, s[96:99], 0 offset:4 ; 4-byte Folded Reload
	buffer_load_dword v48, off, s[96:99], 0 offset:112 ; 4-byte Folded Reload
	buffer_load_dword v49, off, s[96:99], 0 offset:116 ; 4-byte Folded Reload
	s_waitcnt vmcnt(0)
	v_fma_f64 v[61:62], v[48:49], v[6:7], v[61:62]
	buffer_load_dword v6, off, s[96:99], 0 offset:120 ; 4-byte Folded Reload
	buffer_load_dword v7, off, s[96:99], 0 offset:124 ; 4-byte Folded Reload
	buffer_load_dword v48, off, s[96:99], 0 offset:24 ; 4-byte Folded Reload
	buffer_load_dword v49, off, s[96:99], 0 offset:28 ; 4-byte Folded Reload
	s_waitcnt vmcnt(0)
	v_fma_f64 v[61:62], v[6:7], v[48:49], v[61:62]
	buffer_load_dword v6, off, s[96:99], 0 offset:16 ; 4-byte Folded Reload
	buffer_load_dword v7, off, s[96:99], 0 offset:20 ; 4-byte Folded Reload
	buffer_load_dword v48, off, s[96:99], 0 offset:128 ; 4-byte Folded Reload
	buffer_load_dword v49, off, s[96:99], 0 offset:132 ; 4-byte Folded Reload
	s_waitcnt vmcnt(0)
	v_fma_f64 v[61:62], v[48:49], v[6:7], v[61:62]
	buffer_load_dword v6, off, s[96:99], 0 offset:136 ; 4-byte Folded Reload
	buffer_load_dword v7, off, s[96:99], 0 offset:140 ; 4-byte Folded Reload
	buffer_load_dword v48, off, s[96:99], 0 offset:40 ; 4-byte Folded Reload
	buffer_load_dword v49, off, s[96:99], 0 offset:44 ; 4-byte Folded Reload
	s_waitcnt vmcnt(0)
	v_fma_f64 v[61:62], v[6:7], v[48:49], v[61:62]
	buffer_load_dword v6, off, s[96:99], 0 offset:32 ; 4-byte Folded Reload
	buffer_load_dword v7, off, s[96:99], 0 offset:36 ; 4-byte Folded Reload
	buffer_load_dword v48, off, s[96:99], 0 offset:144 ; 4-byte Folded Reload
	buffer_load_dword v49, off, s[96:99], 0 offset:148 ; 4-byte Folded Reload
	s_waitcnt vmcnt(0)
	v_fma_f64 v[61:62], v[48:49], v[6:7], v[61:62]
	buffer_load_dword v6, off, s[96:99], 0 offset:152 ; 4-byte Folded Reload
	buffer_load_dword v7, off, s[96:99], 0 offset:156 ; 4-byte Folded Reload
	buffer_load_dword v48, off, s[96:99], 0 offset:56 ; 4-byte Folded Reload
	buffer_load_dword v49, off, s[96:99], 0 offset:60 ; 4-byte Folded Reload
	s_waitcnt vmcnt(0)
	v_fma_f64 v[61:62], v[6:7], v[48:49], v[61:62]
	buffer_load_dword v6, off, s[96:99], 0 offset:48 ; 4-byte Folded Reload
	buffer_load_dword v7, off, s[96:99], 0 offset:52 ; 4-byte Folded Reload
	buffer_load_dword v48, off, s[96:99], 0 offset:160 ; 4-byte Folded Reload
	buffer_load_dword v49, off, s[96:99], 0 offset:164 ; 4-byte Folded Reload
	s_waitcnt vmcnt(0)
	v_fma_f64 v[61:62], v[48:49], v[6:7], v[61:62]
	buffer_load_dword v6, off, s[96:99], 0 offset:168 ; 4-byte Folded Reload
	buffer_load_dword v7, off, s[96:99], 0 offset:172 ; 4-byte Folded Reload
	buffer_load_dword v48, off, s[96:99], 0 offset:72 ; 4-byte Folded Reload
	buffer_load_dword v49, off, s[96:99], 0 offset:76 ; 4-byte Folded Reload
	s_waitcnt vmcnt(0)
	v_fma_f64 v[61:62], v[6:7], v[48:49], v[61:62]
	buffer_load_dword v6, off, s[96:99], 0 offset:64 ; 4-byte Folded Reload
	buffer_load_dword v7, off, s[96:99], 0 offset:68 ; 4-byte Folded Reload
	buffer_load_dword v48, off, s[96:99], 0 offset:176 ; 4-byte Folded Reload
	buffer_load_dword v49, off, s[96:99], 0 offset:180 ; 4-byte Folded Reload
	s_waitcnt vmcnt(0)
	v_fma_f64 v[61:62], v[48:49], v[6:7], v[61:62]
	buffer_load_dword v6, off, s[96:99], 0 offset:184 ; 4-byte Folded Reload
	buffer_load_dword v7, off, s[96:99], 0 offset:188 ; 4-byte Folded Reload
	s_waitcnt vmcnt(0)
	v_fma_f64 v[50:51], v[6:7], v[50:51], v[61:62]
	buffer_load_dword v6, off, s[96:99], 0 offset:80 ; 4-byte Folded Reload
	buffer_load_dword v7, off, s[96:99], 0 offset:84 ; 4-byte Folded Reload
	;; [unrolled: 1-line block ×4, first 2 shown]
	s_waitcnt vmcnt(0)
	v_fma_f64 v[48:49], v[48:49], v[6:7], v[50:51]
	buffer_load_dword v6, off, s[96:99], 0 offset:200 ; 4-byte Folded Reload
	buffer_load_dword v7, off, s[96:99], 0 offset:204 ; 4-byte Folded Reload
	s_waitcnt vmcnt(0)
	v_fma_f64 v[48:49], v[6:7], v[58:59], v[48:49]
	buffer_load_dword v6, off, s[96:99], 0 offset:208 ; 4-byte Folded Reload
	buffer_load_dword v7, off, s[96:99], 0 offset:212 ; 4-byte Folded Reload
	;; [unrolled: 4-line block ×3, first 2 shown]
	s_waitcnt vmcnt(0)
	v_fma_f64 v[6:7], v[6:7], v[14:15], v[48:49]
	v_fma_f64 v[6:7], v[20:21], v[12:13], v[6:7]
	;; [unrolled: 1-line block ×12, first 2 shown]
	buffer_load_dword v0, off, s[96:99], 0 offset:232 ; 4-byte Folded Reload
	s_waitcnt vmcnt(0)
	v_cmp_ge_i32_e32 vcc, v42, v0
	s_or_b64 s[88:89], vcc, s[88:89]
	s_andn2_b64 exec, exec, s[88:89]
	s_cbranch_execz .LBB12_2
.LBB12_7:                               ;   Parent Loop BB12_4 Depth=1
                                        ; =>  This Inner Loop Header: Depth=2
	buffer_store_dword v12, off, s[96:99], 0 offset:88 ; 4-byte Folded Spill
	s_nop 0
	buffer_store_dword v13, off, s[96:99], 0 offset:92 ; 4-byte Folded Spill
	buffer_load_dword v4, off, s[96:99], 0 offset:224 ; 4-byte Folded Reload
	v_ashrrev_i32_e32 v61, 31, v60
	v_lshlrev_b64 v[0:1], 3, v[60:61]
	v_mov_b32_e32 v48, 0
	v_mov_b32_e32 v49, 0
	s_waitcnt vmcnt(0)
	v_add_co_u32_e32 v43, vcc, v4, v0
	buffer_load_dword v0, off, s[96:99], 0 offset:228 ; 4-byte Folded Reload
	s_waitcnt vmcnt(0)
	v_addc_co_u32_e32 v61, vcc, v0, v1, vcc
	global_load_dwordx2 v[0:1], v[2:3], off
	s_waitcnt vmcnt(0)
	buffer_store_dword v0, off, s[96:99], 0 offset:96 ; 4-byte Folded Spill
	s_nop 0
	buffer_store_dword v1, off, s[96:99], 0 offset:100 ; 4-byte Folded Spill
	s_and_saveexec_b64 s[0:1], s[26:27]
	s_cbranch_execz .LBB12_9
; %bb.8:                                ;   in Loop: Header=BB12_7 Depth=2
	buffer_load_dword v0, off, s[96:99], 0 offset:236 ; 4-byte Folded Reload
	buffer_load_dword v1, off, s[96:99], 0 offset:240 ; 4-byte Folded Reload
	s_waitcnt vmcnt(1)
	v_add_co_u32_e32 v0, vcc, v43, v0
	s_waitcnt vmcnt(0)
	v_addc_co_u32_e32 v1, vcc, v61, v1, vcc
	global_load_dwordx2 v[48:49], v[0:1], off
.LBB12_9:                               ;   in Loop: Header=BB12_7 Depth=2
	s_or_b64 exec, exec, s[0:1]
	global_load_dwordx2 v[0:1], v[2:3], off offset:8
	s_waitcnt vmcnt(0)
	buffer_store_dword v0, off, s[96:99], 0 offset:104 ; 4-byte Folded Spill
	s_nop 0
	buffer_store_dword v1, off, s[96:99], 0 offset:108 ; 4-byte Folded Spill
	v_mov_b32_e32 v0, 0
	v_mov_b32_e32 v1, 0
	buffer_store_dword v0, off, s[96:99], 0 ; 4-byte Folded Spill
	s_nop 0
	buffer_store_dword v1, off, s[96:99], 0 offset:4 ; 4-byte Folded Spill
	v_mov_b32_e32 v0, 0
	v_mov_b32_e32 v1, 0
	buffer_store_dword v0, off, s[96:99], 0 offset:8 ; 4-byte Folded Spill
	s_nop 0
	buffer_store_dword v1, off, s[96:99], 0 offset:12 ; 4-byte Folded Spill
	s_and_saveexec_b64 s[0:1], s[28:29]
	s_cbranch_execz .LBB12_11
; %bb.10:                               ;   in Loop: Header=BB12_7 Depth=2
	buffer_load_dword v0, off, s[96:99], 0 offset:244 ; 4-byte Folded Reload
	buffer_load_dword v1, off, s[96:99], 0 offset:248 ; 4-byte Folded Reload
	s_waitcnt vmcnt(1)
	v_add_co_u32_e32 v0, vcc, v43, v0
	s_waitcnt vmcnt(0)
	v_addc_co_u32_e32 v1, vcc, v61, v1, vcc
	global_load_dwordx2 v[0:1], v[0:1], off
	s_waitcnt vmcnt(0)
	buffer_store_dword v0, off, s[96:99], 0 offset:8 ; 4-byte Folded Spill
	s_nop 0
	buffer_store_dword v1, off, s[96:99], 0 offset:12 ; 4-byte Folded Spill
.LBB12_11:                              ;   in Loop: Header=BB12_7 Depth=2
	s_or_b64 exec, exec, s[0:1]
	global_load_dwordx2 v[0:1], v[2:3], off offset:16
	s_waitcnt vmcnt(0)
	buffer_store_dword v0, off, s[96:99], 0 offset:112 ; 4-byte Folded Spill
	s_nop 0
	buffer_store_dword v1, off, s[96:99], 0 offset:116 ; 4-byte Folded Spill
	s_and_saveexec_b64 s[0:1], s[30:31]
	s_cbranch_execz .LBB12_13
; %bb.12:                               ;   in Loop: Header=BB12_7 Depth=2
	buffer_load_dword v0, off, s[96:99], 0 offset:252 ; 4-byte Folded Reload
	buffer_load_dword v1, off, s[96:99], 0 offset:256 ; 4-byte Folded Reload
	s_waitcnt vmcnt(1)
	v_add_co_u32_e32 v0, vcc, v43, v0
	s_waitcnt vmcnt(0)
	v_addc_co_u32_e32 v1, vcc, v61, v1, vcc
	global_load_dwordx2 v[0:1], v[0:1], off
	s_waitcnt vmcnt(0)
	buffer_store_dword v0, off, s[96:99], 0 ; 4-byte Folded Spill
	s_nop 0
	buffer_store_dword v1, off, s[96:99], 0 offset:4 ; 4-byte Folded Spill
.LBB12_13:                              ;   in Loop: Header=BB12_7 Depth=2
	s_or_b64 exec, exec, s[0:1]
	global_load_dwordx2 v[0:1], v[2:3], off offset:24
	s_waitcnt vmcnt(0)
	buffer_store_dword v0, off, s[96:99], 0 offset:120 ; 4-byte Folded Spill
	s_nop 0
	buffer_store_dword v1, off, s[96:99], 0 offset:124 ; 4-byte Folded Spill
	v_mov_b32_e32 v0, 0
	v_mov_b32_e32 v1, 0
	buffer_store_dword v0, off, s[96:99], 0 offset:16 ; 4-byte Folded Spill
	s_nop 0
	buffer_store_dword v1, off, s[96:99], 0 offset:20 ; 4-byte Folded Spill
	v_mov_b32_e32 v0, 0
	v_mov_b32_e32 v1, 0
	buffer_store_dword v0, off, s[96:99], 0 offset:24 ; 4-byte Folded Spill
	s_nop 0
	buffer_store_dword v1, off, s[96:99], 0 offset:28 ; 4-byte Folded Spill
	s_and_saveexec_b64 s[0:1], s[64:65]
	s_cbranch_execz .LBB12_15
; %bb.14:                               ;   in Loop: Header=BB12_7 Depth=2
	buffer_load_dword v0, off, s[96:99], 0 offset:260 ; 4-byte Folded Reload
	buffer_load_dword v1, off, s[96:99], 0 offset:264 ; 4-byte Folded Reload
	s_waitcnt vmcnt(1)
	v_add_co_u32_e32 v0, vcc, v43, v0
	s_waitcnt vmcnt(0)
	v_addc_co_u32_e32 v1, vcc, v61, v1, vcc
	global_load_dwordx2 v[0:1], v[0:1], off
	s_waitcnt vmcnt(0)
	buffer_store_dword v0, off, s[96:99], 0 offset:24 ; 4-byte Folded Spill
	s_nop 0
	buffer_store_dword v1, off, s[96:99], 0 offset:28 ; 4-byte Folded Spill
.LBB12_15:                              ;   in Loop: Header=BB12_7 Depth=2
	s_or_b64 exec, exec, s[0:1]
	global_load_dwordx2 v[0:1], v[2:3], off offset:32
	s_waitcnt vmcnt(0)
	buffer_store_dword v0, off, s[96:99], 0 offset:128 ; 4-byte Folded Spill
	s_nop 0
	buffer_store_dword v1, off, s[96:99], 0 offset:132 ; 4-byte Folded Spill
	s_and_saveexec_b64 s[0:1], s[66:67]
	s_cbranch_execz .LBB12_17
; %bb.16:                               ;   in Loop: Header=BB12_7 Depth=2
	buffer_load_dword v0, off, s[96:99], 0 offset:268 ; 4-byte Folded Reload
	buffer_load_dword v1, off, s[96:99], 0 offset:272 ; 4-byte Folded Reload
	s_waitcnt vmcnt(1)
	v_add_co_u32_e32 v0, vcc, v43, v0
	s_waitcnt vmcnt(0)
	v_addc_co_u32_e32 v1, vcc, v61, v1, vcc
	global_load_dwordx2 v[0:1], v[0:1], off
	s_waitcnt vmcnt(0)
	buffer_store_dword v0, off, s[96:99], 0 offset:16 ; 4-byte Folded Spill
	s_nop 0
	buffer_store_dword v1, off, s[96:99], 0 offset:20 ; 4-byte Folded Spill
.LBB12_17:                              ;   in Loop: Header=BB12_7 Depth=2
	s_or_b64 exec, exec, s[0:1]
	global_load_dwordx2 v[0:1], v[2:3], off offset:40
	s_waitcnt vmcnt(0)
	buffer_store_dword v0, off, s[96:99], 0 offset:136 ; 4-byte Folded Spill
	s_nop 0
	buffer_store_dword v1, off, s[96:99], 0 offset:140 ; 4-byte Folded Spill
	v_mov_b32_e32 v0, 0
	v_mov_b32_e32 v1, 0
	buffer_store_dword v0, off, s[96:99], 0 offset:32 ; 4-byte Folded Spill
	s_nop 0
	buffer_store_dword v1, off, s[96:99], 0 offset:36 ; 4-byte Folded Spill
	v_mov_b32_e32 v0, 0
	v_mov_b32_e32 v1, 0
	buffer_store_dword v0, off, s[96:99], 0 offset:40 ; 4-byte Folded Spill
	s_nop 0
	buffer_store_dword v1, off, s[96:99], 0 offset:44 ; 4-byte Folded Spill
	s_and_saveexec_b64 s[0:1], s[68:69]
	s_cbranch_execz .LBB12_19
; %bb.18:                               ;   in Loop: Header=BB12_7 Depth=2
	buffer_load_dword v0, off, s[96:99], 0 offset:276 ; 4-byte Folded Reload
	buffer_load_dword v1, off, s[96:99], 0 offset:280 ; 4-byte Folded Reload
	s_waitcnt vmcnt(1)
	v_add_co_u32_e32 v0, vcc, v43, v0
	s_waitcnt vmcnt(0)
	v_addc_co_u32_e32 v1, vcc, v61, v1, vcc
	global_load_dwordx2 v[0:1], v[0:1], off
	s_waitcnt vmcnt(0)
	buffer_store_dword v0, off, s[96:99], 0 offset:40 ; 4-byte Folded Spill
	s_nop 0
	buffer_store_dword v1, off, s[96:99], 0 offset:44 ; 4-byte Folded Spill
.LBB12_19:                              ;   in Loop: Header=BB12_7 Depth=2
	s_or_b64 exec, exec, s[0:1]
	global_load_dwordx2 v[0:1], v[2:3], off offset:48
	s_waitcnt vmcnt(0)
	buffer_store_dword v0, off, s[96:99], 0 offset:144 ; 4-byte Folded Spill
	s_nop 0
	buffer_store_dword v1, off, s[96:99], 0 offset:148 ; 4-byte Folded Spill
	s_and_saveexec_b64 s[0:1], s[70:71]
	s_cbranch_execz .LBB12_21
; %bb.20:                               ;   in Loop: Header=BB12_7 Depth=2
	buffer_load_dword v0, off, s[96:99], 0 offset:284 ; 4-byte Folded Reload
	buffer_load_dword v1, off, s[96:99], 0 offset:288 ; 4-byte Folded Reload
	s_waitcnt vmcnt(1)
	v_add_co_u32_e32 v0, vcc, v43, v0
	s_waitcnt vmcnt(0)
	v_addc_co_u32_e32 v1, vcc, v61, v1, vcc
	global_load_dwordx2 v[0:1], v[0:1], off
	s_waitcnt vmcnt(0)
	buffer_store_dword v0, off, s[96:99], 0 offset:32 ; 4-byte Folded Spill
	s_nop 0
	buffer_store_dword v1, off, s[96:99], 0 offset:36 ; 4-byte Folded Spill
.LBB12_21:                              ;   in Loop: Header=BB12_7 Depth=2
	;; [unrolled: 52-line block ×4, first 2 shown]
	s_or_b64 exec, exec, s[0:1]
	global_load_dwordx2 v[0:1], v[2:3], off offset:88
	v_mov_b32_e32 v50, 0
	v_mov_b32_e32 v51, 0
	s_waitcnt vmcnt(0)
	buffer_store_dword v0, off, s[96:99], 0 offset:184 ; 4-byte Folded Spill
	s_nop 0
	buffer_store_dword v1, off, s[96:99], 0 offset:188 ; 4-byte Folded Spill
	v_mov_b32_e32 v0, 0
	v_mov_b32_e32 v1, 0
	buffer_store_dword v0, off, s[96:99], 0 offset:80 ; 4-byte Folded Spill
	s_nop 0
	buffer_store_dword v1, off, s[96:99], 0 offset:84 ; 4-byte Folded Spill
	s_and_saveexec_b64 s[0:1], s[22:23]
	s_cbranch_execz .LBB12_31
; %bb.30:                               ;   in Loop: Header=BB12_7 Depth=2
	buffer_load_dword v0, off, s[96:99], 0 offset:324 ; 4-byte Folded Reload
	buffer_load_dword v1, off, s[96:99], 0 offset:328 ; 4-byte Folded Reload
	s_waitcnt vmcnt(1)
	v_add_co_u32_e32 v0, vcc, v43, v0
	s_waitcnt vmcnt(0)
	v_addc_co_u32_e32 v1, vcc, v61, v1, vcc
	global_load_dwordx2 v[50:51], v[0:1], off
.LBB12_31:                              ;   in Loop: Header=BB12_7 Depth=2
	s_or_b64 exec, exec, s[0:1]
	global_load_dwordx2 v[0:1], v[2:3], off offset:96
	s_waitcnt vmcnt(0)
	buffer_store_dword v0, off, s[96:99], 0 offset:192 ; 4-byte Folded Spill
	s_nop 0
	buffer_store_dword v1, off, s[96:99], 0 offset:196 ; 4-byte Folded Spill
	s_and_saveexec_b64 s[0:1], s[24:25]
	s_cbranch_execz .LBB12_33
; %bb.32:                               ;   in Loop: Header=BB12_7 Depth=2
	buffer_load_dword v0, off, s[96:99], 0 offset:332 ; 4-byte Folded Reload
	buffer_load_dword v1, off, s[96:99], 0 offset:336 ; 4-byte Folded Reload
	s_waitcnt vmcnt(1)
	v_add_co_u32_e32 v0, vcc, v43, v0
	s_waitcnt vmcnt(0)
	v_addc_co_u32_e32 v1, vcc, v61, v1, vcc
	global_load_dwordx2 v[0:1], v[0:1], off
	s_waitcnt vmcnt(0)
	buffer_store_dword v0, off, s[96:99], 0 offset:80 ; 4-byte Folded Spill
	s_nop 0
	buffer_store_dword v1, off, s[96:99], 0 offset:84 ; 4-byte Folded Spill
.LBB12_33:                              ;   in Loop: Header=BB12_7 Depth=2
	s_or_b64 exec, exec, s[0:1]
	global_load_dwordx2 v[0:1], v[2:3], off offset:104
	v_mov_b32_e32 v56, 0
	v_mov_b32_e32 v58, 0
	;; [unrolled: 1-line block ×4, first 2 shown]
	s_waitcnt vmcnt(0)
	buffer_store_dword v0, off, s[96:99], 0 offset:200 ; 4-byte Folded Spill
	s_nop 0
	buffer_store_dword v1, off, s[96:99], 0 offset:204 ; 4-byte Folded Spill
	s_and_saveexec_b64 s[0:1], s[74:75]
	s_cbranch_execz .LBB12_35
; %bb.34:                               ;   in Loop: Header=BB12_7 Depth=2
	buffer_load_dword v0, off, s[96:99], 0 offset:340 ; 4-byte Folded Reload
	buffer_load_dword v1, off, s[96:99], 0 offset:344 ; 4-byte Folded Reload
	s_waitcnt vmcnt(1)
	v_add_co_u32_e32 v0, vcc, v43, v0
	s_waitcnt vmcnt(0)
	v_addc_co_u32_e32 v1, vcc, v61, v1, vcc
	global_load_dwordx2 v[58:59], v[0:1], off
.LBB12_35:                              ;   in Loop: Header=BB12_7 Depth=2
	s_or_b64 exec, exec, s[0:1]
	global_load_dwordx2 v[0:1], v[2:3], off offset:112
	s_waitcnt vmcnt(0)
	buffer_store_dword v0, off, s[96:99], 0 offset:208 ; 4-byte Folded Spill
	s_nop 0
	buffer_store_dword v1, off, s[96:99], 0 offset:212 ; 4-byte Folded Spill
	s_and_saveexec_b64 s[0:1], s[76:77]
	s_cbranch_execz .LBB12_37
; %bb.36:                               ;   in Loop: Header=BB12_7 Depth=2
	buffer_load_dword v0, off, s[96:99], 0 offset:348 ; 4-byte Folded Reload
	buffer_load_dword v1, off, s[96:99], 0 offset:352 ; 4-byte Folded Reload
	s_waitcnt vmcnt(1)
	v_add_co_u32_e32 v0, vcc, v43, v0
	s_waitcnt vmcnt(0)
	v_addc_co_u32_e32 v1, vcc, v61, v1, vcc
	global_load_dwordx2 v[56:57], v[0:1], off
.LBB12_37:                              ;   in Loop: Header=BB12_7 Depth=2
	s_or_b64 exec, exec, s[0:1]
	global_load_dwordx2 v[0:1], v[2:3], off offset:120
	v_mov_b32_e32 v12, 0
	v_mov_b32_e32 v14, 0
	;; [unrolled: 1-line block ×4, first 2 shown]
	s_waitcnt vmcnt(0)
	buffer_store_dword v0, off, s[96:99], 0 offset:216 ; 4-byte Folded Spill
	s_nop 0
	buffer_store_dword v1, off, s[96:99], 0 offset:220 ; 4-byte Folded Spill
	s_and_saveexec_b64 s[0:1], s[78:79]
	s_cbranch_execz .LBB12_39
; %bb.38:                               ;   in Loop: Header=BB12_7 Depth=2
	buffer_load_dword v0, off, s[96:99], 0 offset:356 ; 4-byte Folded Reload
	buffer_load_dword v1, off, s[96:99], 0 offset:360 ; 4-byte Folded Reload
	s_waitcnt vmcnt(1)
	v_add_co_u32_e32 v0, vcc, v43, v0
	s_waitcnt vmcnt(0)
	v_addc_co_u32_e32 v1, vcc, v61, v1, vcc
	global_load_dwordx2 v[14:15], v[0:1], off
.LBB12_39:                              ;   in Loop: Header=BB12_7 Depth=2
	s_or_b64 exec, exec, s[0:1]
	global_load_dwordx2 v[20:21], v[2:3], off offset:128
	s_and_saveexec_b64 s[0:1], s[80:81]
	s_cbranch_execz .LBB12_41
; %bb.40:                               ;   in Loop: Header=BB12_7 Depth=2
	buffer_load_dword v0, off, s[96:99], 0 offset:364 ; 4-byte Folded Reload
	buffer_load_dword v1, off, s[96:99], 0 offset:368 ; 4-byte Folded Reload
	s_waitcnt vmcnt(1)
	v_add_co_u32_e32 v0, vcc, v43, v0
	s_waitcnt vmcnt(0)
	v_addc_co_u32_e32 v1, vcc, v61, v1, vcc
	global_load_dwordx2 v[12:13], v[0:1], off
.LBB12_41:                              ;   in Loop: Header=BB12_7 Depth=2
	s_or_b64 exec, exec, s[0:1]
	global_load_dwordx2 v[22:23], v[2:3], off offset:136
	v_mov_b32_e32 v0, 0
	v_mov_b32_e32 v28, 0
	v_mov_b32_e32 v1, 0
	v_mov_b32_e32 v29, 0
	s_and_saveexec_b64 s[0:1], s[82:83]
	s_cbranch_execz .LBB12_43
; %bb.42:                               ;   in Loop: Header=BB12_7 Depth=2
	buffer_load_dword v4, off, s[96:99], 0 offset:372 ; 4-byte Folded Reload
	buffer_load_dword v5, off, s[96:99], 0 offset:376 ; 4-byte Folded Reload
	s_waitcnt vmcnt(1)
	v_add_co_u32_e32 v4, vcc, v43, v4
	s_waitcnt vmcnt(0)
	v_addc_co_u32_e32 v5, vcc, v61, v5, vcc
	global_load_dwordx2 v[28:29], v[4:5], off
.LBB12_43:                              ;   in Loop: Header=BB12_7 Depth=2
	s_or_b64 exec, exec, s[0:1]
	global_load_dwordx2 v[30:31], v[2:3], off offset:144
	s_and_saveexec_b64 s[0:1], s[84:85]
	s_cbranch_execz .LBB12_45
; %bb.44:                               ;   in Loop: Header=BB12_7 Depth=2
	buffer_load_dword v0, off, s[96:99], 0 offset:380 ; 4-byte Folded Reload
	buffer_load_dword v1, off, s[96:99], 0 offset:384 ; 4-byte Folded Reload
	s_waitcnt vmcnt(1)
	v_add_co_u32_e32 v0, vcc, v43, v0
	s_waitcnt vmcnt(0)
	v_addc_co_u32_e32 v1, vcc, v61, v1, vcc
	global_load_dwordx2 v[0:1], v[0:1], off
.LBB12_45:                              ;   in Loop: Header=BB12_7 Depth=2
	s_or_b64 exec, exec, s[0:1]
	global_load_dwordx2 v[8:9], v[2:3], off offset:152
	v_mov_b32_e32 v10, 0
	v_mov_b32_e32 v36, 0
	v_mov_b32_e32 v11, 0
	v_mov_b32_e32 v37, 0
	;; [unrolled: 30-line block ×5, first 2 shown]
	s_and_saveexec_b64 s[0:1], s[12:13]
	s_cbranch_execz .LBB12_59
; %bb.58:                               ;   in Loop: Header=BB12_7 Depth=2
	buffer_load_dword v40, off, s[96:99], 0 offset:436 ; 4-byte Folded Reload
	buffer_load_dword v41, off, s[96:99], 0 offset:440 ; 4-byte Folded Reload
	s_waitcnt vmcnt(1)
	v_add_co_u32_e32 v40, vcc, v43, v40
	s_waitcnt vmcnt(0)
	v_addc_co_u32_e32 v41, vcc, v61, v41, vcc
	global_load_dwordx2 v[54:55], v[40:41], off
.LBB12_59:                              ;   in Loop: Header=BB12_7 Depth=2
	s_or_b64 exec, exec, s[0:1]
	global_load_dwordx2 v[40:41], v[2:3], off offset:208
	s_and_saveexec_b64 s[0:1], s[14:15]
	s_cbranch_execz .LBB12_6
; %bb.60:                               ;   in Loop: Header=BB12_7 Depth=2
	buffer_load_dword v52, off, s[96:99], 0 offset:444 ; 4-byte Folded Reload
	buffer_load_dword v53, off, s[96:99], 0 offset:448 ; 4-byte Folded Reload
	s_waitcnt vmcnt(1)
	v_add_co_u32_e32 v52, vcc, v43, v52
	s_waitcnt vmcnt(0)
	v_addc_co_u32_e32 v53, vcc, v61, v53, vcc
	global_load_dwordx2 v[52:53], v[52:53], off
	s_branch .LBB12_6
.LBB12_61:                              ;   in Loop: Header=BB12_4 Depth=1
	v_mov_b32_e32 v12, 0
	v_mov_b32_e32 v13, 0
	s_branch .LBB12_3
.LBB12_62:
	s_endpgm
	.section	.rodata,"a",@progbits
	.p2align	6, 0x0
	.amdhsa_kernel _ZN2at6native12_GLOBAL__N_143conv_depthwise3d_cuda_backward_input_kernelIddLi3ELi3ELi3ELi1ELi1ELi1ELi1ELi1ELi1EEEvN5torch10headeronly6detail27GenericPackedTensorAccessorINS5_14TensorAccessorIN3c108ArrayRefIlEEKT_Lm4ENS4_16DefaultPtrTraitsEiEENS_6detail16IndexBoundsCheckILm5EiEESC_Lm5ESD_iEENS6_INS7_ISA_SB_Lm4ESD_iEESH_SB_Lm5ESD_iEESI_iiiiiiiii
		.amdhsa_group_segment_fixed_size 0
		.amdhsa_private_segment_fixed_size 500
		.amdhsa_kernarg_size 440
		.amdhsa_user_sgpr_count 6
		.amdhsa_user_sgpr_private_segment_buffer 1
		.amdhsa_user_sgpr_dispatch_ptr 0
		.amdhsa_user_sgpr_queue_ptr 0
		.amdhsa_user_sgpr_kernarg_segment_ptr 1
		.amdhsa_user_sgpr_dispatch_id 0
		.amdhsa_user_sgpr_flat_scratch_init 0
		.amdhsa_user_sgpr_private_segment_size 0
		.amdhsa_uses_dynamic_stack 0
		.amdhsa_system_sgpr_private_segment_wavefront_offset 1
		.amdhsa_system_sgpr_workgroup_id_x 1
		.amdhsa_system_sgpr_workgroup_id_y 0
		.amdhsa_system_sgpr_workgroup_id_z 0
		.amdhsa_system_sgpr_workgroup_info 0
		.amdhsa_system_vgpr_workitem_id 0
		.amdhsa_next_free_vgpr 64
		.amdhsa_next_free_sgpr 100
		.amdhsa_reserve_vcc 1
		.amdhsa_reserve_flat_scratch 0
		.amdhsa_float_round_mode_32 0
		.amdhsa_float_round_mode_16_64 0
		.amdhsa_float_denorm_mode_32 3
		.amdhsa_float_denorm_mode_16_64 3
		.amdhsa_dx10_clamp 1
		.amdhsa_ieee_mode 1
		.amdhsa_fp16_overflow 0
		.amdhsa_exception_fp_ieee_invalid_op 0
		.amdhsa_exception_fp_denorm_src 0
		.amdhsa_exception_fp_ieee_div_zero 0
		.amdhsa_exception_fp_ieee_overflow 0
		.amdhsa_exception_fp_ieee_underflow 0
		.amdhsa_exception_fp_ieee_inexact 0
		.amdhsa_exception_int_div_zero 0
	.end_amdhsa_kernel
	.section	.text._ZN2at6native12_GLOBAL__N_143conv_depthwise3d_cuda_backward_input_kernelIddLi3ELi3ELi3ELi1ELi1ELi1ELi1ELi1ELi1EEEvN5torch10headeronly6detail27GenericPackedTensorAccessorINS5_14TensorAccessorIN3c108ArrayRefIlEEKT_Lm4ENS4_16DefaultPtrTraitsEiEENS_6detail16IndexBoundsCheckILm5EiEESC_Lm5ESD_iEENS6_INS7_ISA_SB_Lm4ESD_iEESH_SB_Lm5ESD_iEESI_iiiiiiiii,"axG",@progbits,_ZN2at6native12_GLOBAL__N_143conv_depthwise3d_cuda_backward_input_kernelIddLi3ELi3ELi3ELi1ELi1ELi1ELi1ELi1ELi1EEEvN5torch10headeronly6detail27GenericPackedTensorAccessorINS5_14TensorAccessorIN3c108ArrayRefIlEEKT_Lm4ENS4_16DefaultPtrTraitsEiEENS_6detail16IndexBoundsCheckILm5EiEESC_Lm5ESD_iEENS6_INS7_ISA_SB_Lm4ESD_iEESH_SB_Lm5ESD_iEESI_iiiiiiiii,comdat
.Lfunc_end12:
	.size	_ZN2at6native12_GLOBAL__N_143conv_depthwise3d_cuda_backward_input_kernelIddLi3ELi3ELi3ELi1ELi1ELi1ELi1ELi1ELi1EEEvN5torch10headeronly6detail27GenericPackedTensorAccessorINS5_14TensorAccessorIN3c108ArrayRefIlEEKT_Lm4ENS4_16DefaultPtrTraitsEiEENS_6detail16IndexBoundsCheckILm5EiEESC_Lm5ESD_iEENS6_INS7_ISA_SB_Lm4ESD_iEESH_SB_Lm5ESD_iEESI_iiiiiiiii, .Lfunc_end12-_ZN2at6native12_GLOBAL__N_143conv_depthwise3d_cuda_backward_input_kernelIddLi3ELi3ELi3ELi1ELi1ELi1ELi1ELi1ELi1EEEvN5torch10headeronly6detail27GenericPackedTensorAccessorINS5_14TensorAccessorIN3c108ArrayRefIlEEKT_Lm4ENS4_16DefaultPtrTraitsEiEENS_6detail16IndexBoundsCheckILm5EiEESC_Lm5ESD_iEENS6_INS7_ISA_SB_Lm4ESD_iEESH_SB_Lm5ESD_iEESI_iiiiiiiii
                                        ; -- End function
	.set _ZN2at6native12_GLOBAL__N_143conv_depthwise3d_cuda_backward_input_kernelIddLi3ELi3ELi3ELi1ELi1ELi1ELi1ELi1ELi1EEEvN5torch10headeronly6detail27GenericPackedTensorAccessorINS5_14TensorAccessorIN3c108ArrayRefIlEEKT_Lm4ENS4_16DefaultPtrTraitsEiEENS_6detail16IndexBoundsCheckILm5EiEESC_Lm5ESD_iEENS6_INS7_ISA_SB_Lm4ESD_iEESH_SB_Lm5ESD_iEESI_iiiiiiiii.num_vgpr, 64
	.set _ZN2at6native12_GLOBAL__N_143conv_depthwise3d_cuda_backward_input_kernelIddLi3ELi3ELi3ELi1ELi1ELi1ELi1ELi1ELi1EEEvN5torch10headeronly6detail27GenericPackedTensorAccessorINS5_14TensorAccessorIN3c108ArrayRefIlEEKT_Lm4ENS4_16DefaultPtrTraitsEiEENS_6detail16IndexBoundsCheckILm5EiEESC_Lm5ESD_iEENS6_INS7_ISA_SB_Lm4ESD_iEESH_SB_Lm5ESD_iEESI_iiiiiiiii.num_agpr, 0
	.set _ZN2at6native12_GLOBAL__N_143conv_depthwise3d_cuda_backward_input_kernelIddLi3ELi3ELi3ELi1ELi1ELi1ELi1ELi1ELi1EEEvN5torch10headeronly6detail27GenericPackedTensorAccessorINS5_14TensorAccessorIN3c108ArrayRefIlEEKT_Lm4ENS4_16DefaultPtrTraitsEiEENS_6detail16IndexBoundsCheckILm5EiEESC_Lm5ESD_iEENS6_INS7_ISA_SB_Lm4ESD_iEESH_SB_Lm5ESD_iEESI_iiiiiiiii.numbered_sgpr, 100
	.set _ZN2at6native12_GLOBAL__N_143conv_depthwise3d_cuda_backward_input_kernelIddLi3ELi3ELi3ELi1ELi1ELi1ELi1ELi1ELi1EEEvN5torch10headeronly6detail27GenericPackedTensorAccessorINS5_14TensorAccessorIN3c108ArrayRefIlEEKT_Lm4ENS4_16DefaultPtrTraitsEiEENS_6detail16IndexBoundsCheckILm5EiEESC_Lm5ESD_iEENS6_INS7_ISA_SB_Lm4ESD_iEESH_SB_Lm5ESD_iEESI_iiiiiiiii.num_named_barrier, 0
	.set _ZN2at6native12_GLOBAL__N_143conv_depthwise3d_cuda_backward_input_kernelIddLi3ELi3ELi3ELi1ELi1ELi1ELi1ELi1ELi1EEEvN5torch10headeronly6detail27GenericPackedTensorAccessorINS5_14TensorAccessorIN3c108ArrayRefIlEEKT_Lm4ENS4_16DefaultPtrTraitsEiEENS_6detail16IndexBoundsCheckILm5EiEESC_Lm5ESD_iEENS6_INS7_ISA_SB_Lm4ESD_iEESH_SB_Lm5ESD_iEESI_iiiiiiiii.private_seg_size, 500
	.set _ZN2at6native12_GLOBAL__N_143conv_depthwise3d_cuda_backward_input_kernelIddLi3ELi3ELi3ELi1ELi1ELi1ELi1ELi1ELi1EEEvN5torch10headeronly6detail27GenericPackedTensorAccessorINS5_14TensorAccessorIN3c108ArrayRefIlEEKT_Lm4ENS4_16DefaultPtrTraitsEiEENS_6detail16IndexBoundsCheckILm5EiEESC_Lm5ESD_iEENS6_INS7_ISA_SB_Lm4ESD_iEESH_SB_Lm5ESD_iEESI_iiiiiiiii.uses_vcc, 1
	.set _ZN2at6native12_GLOBAL__N_143conv_depthwise3d_cuda_backward_input_kernelIddLi3ELi3ELi3ELi1ELi1ELi1ELi1ELi1ELi1EEEvN5torch10headeronly6detail27GenericPackedTensorAccessorINS5_14TensorAccessorIN3c108ArrayRefIlEEKT_Lm4ENS4_16DefaultPtrTraitsEiEENS_6detail16IndexBoundsCheckILm5EiEESC_Lm5ESD_iEENS6_INS7_ISA_SB_Lm4ESD_iEESH_SB_Lm5ESD_iEESI_iiiiiiiii.uses_flat_scratch, 0
	.set _ZN2at6native12_GLOBAL__N_143conv_depthwise3d_cuda_backward_input_kernelIddLi3ELi3ELi3ELi1ELi1ELi1ELi1ELi1ELi1EEEvN5torch10headeronly6detail27GenericPackedTensorAccessorINS5_14TensorAccessorIN3c108ArrayRefIlEEKT_Lm4ENS4_16DefaultPtrTraitsEiEENS_6detail16IndexBoundsCheckILm5EiEESC_Lm5ESD_iEENS6_INS7_ISA_SB_Lm4ESD_iEESH_SB_Lm5ESD_iEESI_iiiiiiiii.has_dyn_sized_stack, 0
	.set _ZN2at6native12_GLOBAL__N_143conv_depthwise3d_cuda_backward_input_kernelIddLi3ELi3ELi3ELi1ELi1ELi1ELi1ELi1ELi1EEEvN5torch10headeronly6detail27GenericPackedTensorAccessorINS5_14TensorAccessorIN3c108ArrayRefIlEEKT_Lm4ENS4_16DefaultPtrTraitsEiEENS_6detail16IndexBoundsCheckILm5EiEESC_Lm5ESD_iEENS6_INS7_ISA_SB_Lm4ESD_iEESH_SB_Lm5ESD_iEESI_iiiiiiiii.has_recursion, 0
	.set _ZN2at6native12_GLOBAL__N_143conv_depthwise3d_cuda_backward_input_kernelIddLi3ELi3ELi3ELi1ELi1ELi1ELi1ELi1ELi1EEEvN5torch10headeronly6detail27GenericPackedTensorAccessorINS5_14TensorAccessorIN3c108ArrayRefIlEEKT_Lm4ENS4_16DefaultPtrTraitsEiEENS_6detail16IndexBoundsCheckILm5EiEESC_Lm5ESD_iEENS6_INS7_ISA_SB_Lm4ESD_iEESH_SB_Lm5ESD_iEESI_iiiiiiiii.has_indirect_call, 0
	.section	.AMDGPU.csdata,"",@progbits
; Kernel info:
; codeLenInByte = 6960
; TotalNumSgprs: 104
; NumVgprs: 64
; ScratchSize: 500
; MemoryBound: 0
; FloatMode: 240
; IeeeMode: 1
; LDSByteSize: 0 bytes/workgroup (compile time only)
; SGPRBlocks: 12
; VGPRBlocks: 15
; NumSGPRsForWavesPerEU: 104
; NumVGPRsForWavesPerEU: 64
; Occupancy: 4
; WaveLimiterHint : 0
; COMPUTE_PGM_RSRC2:SCRATCH_EN: 1
; COMPUTE_PGM_RSRC2:USER_SGPR: 6
; COMPUTE_PGM_RSRC2:TRAP_HANDLER: 0
; COMPUTE_PGM_RSRC2:TGID_X_EN: 1
; COMPUTE_PGM_RSRC2:TGID_Y_EN: 0
; COMPUTE_PGM_RSRC2:TGID_Z_EN: 0
; COMPUTE_PGM_RSRC2:TIDIG_COMP_CNT: 0
	.section	.text._ZN2at6native12_GLOBAL__N_143conv_depthwise3d_cuda_backward_input_kernelIddLi3ELi3ELi3ELi1ELi1ELi1ELin1ELin1ELin1EEEvN5torch10headeronly6detail27GenericPackedTensorAccessorINS5_14TensorAccessorIN3c108ArrayRefIlEEKT_Lm4ENS4_16DefaultPtrTraitsEiEENS_6detail16IndexBoundsCheckILm5EiEESC_Lm5ESD_iEENS6_INS7_ISA_SB_Lm4ESD_iEESH_SB_Lm5ESD_iEESI_iiiiiiiii,"axG",@progbits,_ZN2at6native12_GLOBAL__N_143conv_depthwise3d_cuda_backward_input_kernelIddLi3ELi3ELi3ELi1ELi1ELi1ELin1ELin1ELin1EEEvN5torch10headeronly6detail27GenericPackedTensorAccessorINS5_14TensorAccessorIN3c108ArrayRefIlEEKT_Lm4ENS4_16DefaultPtrTraitsEiEENS_6detail16IndexBoundsCheckILm5EiEESC_Lm5ESD_iEENS6_INS7_ISA_SB_Lm4ESD_iEESH_SB_Lm5ESD_iEESI_iiiiiiiii,comdat
	.globl	_ZN2at6native12_GLOBAL__N_143conv_depthwise3d_cuda_backward_input_kernelIddLi3ELi3ELi3ELi1ELi1ELi1ELin1ELin1ELin1EEEvN5torch10headeronly6detail27GenericPackedTensorAccessorINS5_14TensorAccessorIN3c108ArrayRefIlEEKT_Lm4ENS4_16DefaultPtrTraitsEiEENS_6detail16IndexBoundsCheckILm5EiEESC_Lm5ESD_iEENS6_INS7_ISA_SB_Lm4ESD_iEESH_SB_Lm5ESD_iEESI_iiiiiiiii ; -- Begin function _ZN2at6native12_GLOBAL__N_143conv_depthwise3d_cuda_backward_input_kernelIddLi3ELi3ELi3ELi1ELi1ELi1ELin1ELin1ELin1EEEvN5torch10headeronly6detail27GenericPackedTensorAccessorINS5_14TensorAccessorIN3c108ArrayRefIlEEKT_Lm4ENS4_16DefaultPtrTraitsEiEENS_6detail16IndexBoundsCheckILm5EiEESC_Lm5ESD_iEENS6_INS7_ISA_SB_Lm4ESD_iEESH_SB_Lm5ESD_iEESI_iiiiiiiii
	.p2align	8
	.type	_ZN2at6native12_GLOBAL__N_143conv_depthwise3d_cuda_backward_input_kernelIddLi3ELi3ELi3ELi1ELi1ELi1ELin1ELin1ELin1EEEvN5torch10headeronly6detail27GenericPackedTensorAccessorINS5_14TensorAccessorIN3c108ArrayRefIlEEKT_Lm4ENS4_16DefaultPtrTraitsEiEENS_6detail16IndexBoundsCheckILm5EiEESC_Lm5ESD_iEENS6_INS7_ISA_SB_Lm4ESD_iEESH_SB_Lm5ESD_iEESI_iiiiiiiii,@function
_ZN2at6native12_GLOBAL__N_143conv_depthwise3d_cuda_backward_input_kernelIddLi3ELi3ELi3ELi1ELi1ELi1ELin1ELin1ELin1EEEvN5torch10headeronly6detail27GenericPackedTensorAccessorINS5_14TensorAccessorIN3c108ArrayRefIlEEKT_Lm4ENS4_16DefaultPtrTraitsEiEENS_6detail16IndexBoundsCheckILm5EiEESC_Lm5ESD_iEENS6_INS7_ISA_SB_Lm4ESD_iEESH_SB_Lm5ESD_iEESI_iiiiiiiii: ; @_ZN2at6native12_GLOBAL__N_143conv_depthwise3d_cuda_backward_input_kernelIddLi3ELi3ELi3ELi1ELi1ELi1ELin1ELin1ELin1EEEvN5torch10headeronly6detail27GenericPackedTensorAccessorINS5_14TensorAccessorIN3c108ArrayRefIlEEKT_Lm4ENS4_16DefaultPtrTraitsEiEENS_6detail16IndexBoundsCheckILm5EiEESC_Lm5ESD_iEENS6_INS7_ISA_SB_Lm4ESD_iEESH_SB_Lm5ESD_iEESI_iiiiiiiii
; %bb.0:
	s_load_dwordx4 s[8:11], s[4:5], 0x38
	s_load_dwordx2 s[16:17], s[4:5], 0x48
	s_mov_b64 s[98:99], s[2:3]
	s_mov_b64 s[96:97], s[0:1]
	s_add_u32 s96, s96, s7
	s_addc_u32 s97, s97, 0
	s_waitcnt lgkmcnt(0)
	s_abs_i32 s0, s9
	v_cvt_f32_u32_e32 v2, s0
	s_load_dword s2, s[4:5], 0xc4
                                        ; implicit-def: $vgpr62 : SGPR spill to VGPR lane
	v_mov_b32_e32 v1, 0
	v_writelane_b32 v62, s0, 0
	v_rcp_iflag_f32_e32 v2, v2
	s_add_u32 s0, s4, 0xb8
	v_mov_b32_e32 v3, s6
	s_addc_u32 s1, s5, 0
	s_waitcnt lgkmcnt(0)
	s_and_b32 s2, s2, 0xffff
	v_mad_u64_u32 v[3:4], s[6:7], s2, v3, v[0:1]
	v_mul_f32_e32 v2, 0x4f7ffffe, v2
	v_writelane_b32 v62, s8, 1
	v_cvt_u32_f32_e32 v0, v2
	v_writelane_b32 v62, s9, 2
	v_mov_b32_e32 v2, v3
	v_writelane_b32 v62, s10, 3
	s_mul_i32 s6, s17, s8
	v_mov_b32_e32 v3, v4
	v_writelane_b32 v62, s11, 4
	s_ashr_i32 s7, s6, 31
	v_writelane_b32 v62, s6, 5
	v_cmp_gt_i64_e32 vcc, s[6:7], v[2:3]
	v_writelane_b32 v62, s7, 6
	v_readfirstlane_b32 s3, v0
	s_and_saveexec_b64 s[6:7], vcc
	s_cbranch_execz .LBB13_63
; %bb.1:
	s_load_dwordx4 s[20:23], s[4:5], 0xc
	s_load_dwordx4 s[12:15], s[4:5], 0x38
	s_load_dwordx2 s[8:9], s[4:5], 0x0
	v_readlane_b32 s11, v62, 0
	s_sub_i32 s6, 0, s11
	s_waitcnt lgkmcnt(0)
	s_ashr_i32 s7, s20, 31
	s_ashr_i32 s10, s13, 31
	s_load_dwordx2 s[12:13], s[4:5], 0xa0
	v_writelane_b32 v62, s8, 7
	v_writelane_b32 v62, s9, 8
	;; [unrolled: 1-line block ×3, first 2 shown]
	s_mul_i32 s9, s6, s3
	v_writelane_b32 v62, s21, 10
	s_mul_hi_u32 s9, s3, s9
	v_writelane_b32 v62, s22, 11
	s_abs_i32 s8, s20
	s_add_i32 s3, s3, s9
	v_writelane_b32 v62, s23, 12
	s_mul_hi_u32 s3, s8, s3
	s_waitcnt lgkmcnt(0)
	v_writelane_b32 v62, s12, 13
	s_mul_i32 s9, s3, s11
	v_writelane_b32 v62, s13, 14
	s_sub_i32 s8, s8, s9
	v_writelane_b32 v62, s10, 15
	s_xor_b32 s7, s7, s10
	s_add_i32 s9, s3, 1
	s_sub_i32 s10, s8, s11
	s_cmp_ge_u32 s8, s11
	s_cselect_b32 s3, s9, s3
	s_cselect_b32 s8, s10, s8
	s_add_i32 s9, s3, 1
	s_cmp_ge_u32 s8, s11
	s_cselect_b32 s3, s9, s3
	s_xor_b32 s3, s3, s7
	s_sub_i32 s7, s3, s7
	s_load_dword s3, s[0:1], 0x0
	s_load_dwordx4 s[8:11], s[4:5], 0x90
	s_load_dword s12, s[4:5], 0x7c
	v_writelane_b32 v62, s7, 16
	s_cmp_gt_i32 s7, 0
	s_cselect_b64 s[0:1], -1, 0
	s_abs_i32 s7, s16
	s_waitcnt lgkmcnt(0)
	v_writelane_b32 v62, s12, 17
	s_load_dwordx2 s[60:61], s[4:5], 0x1c
	s_load_dwordx2 s[12:13], s[4:5], 0x30
	v_cvt_f32_u32_e32 v1, s7
	s_load_dwordx4 s[20:23], s[4:5], 0x50
	s_mul_i32 s2, s3, s2
	s_abs_i32 s3, s15
	s_waitcnt lgkmcnt(0)
	v_writelane_b32 v62, s12, 18
	v_writelane_b32 v62, s13, 19
	s_load_dwordx2 s[12:13], s[4:5], 0x60
	v_rcp_iflag_f32_e32 v1, v1
	v_mov_b32_e32 v7, v3
	v_mov_b32_e32 v6, v2
	v_cvt_f32_u32_e32 v2, s3
	s_waitcnt lgkmcnt(0)
	v_writelane_b32 v62, s12, 20
	v_writelane_b32 v62, s13, 21
	v_writelane_b32 v62, s20, 22
	v_writelane_b32 v62, s21, 23
	v_mul_f32_e32 v1, 0x4f7ffffe, v1
	v_writelane_b32 v62, s22, 24
	v_cvt_u32_f32_e32 v1, v1
	v_writelane_b32 v62, s23, 25
	v_writelane_b32 v62, s2, 26
	s_ashr_i32 s2, s16, 31
	v_writelane_b32 v62, s2, 27
	s_sub_i32 s2, 0, s7
                                        ; kill: killed $sgpr4 killed $sgpr5
	v_mul_lo_u32 v3, s2, v1
	v_rcp_iflag_f32_e32 v2, v2
	s_abs_i32 s4, s14
	v_cvt_f32_u32_e32 v4, s4
	v_mul_hi_u32 v3, v1, v3
	v_mul_f32_e32 v2, 0x4f7ffffe, v2
	v_cvt_u32_f32_e32 v2, v2
	v_rcp_iflag_f32_e32 v4, v4
	v_add_u32_e32 v1, v1, v3
	s_sub_i32 s2, 0, s3
	buffer_store_dword v1, off, s[96:99], 0 offset:488 ; 4-byte Folded Spill
	v_mul_lo_u32 v1, s2, v2
	v_mul_f32_e32 v3, 0x4f7ffffe, v4
	v_cvt_u32_f32_e32 v3, v3
	v_writelane_b32 v62, s7, 28
	v_writelane_b32 v62, s3, 29
	s_ashr_i32 s2, s15, 31
	v_writelane_b32 v62, s2, 30
	v_mul_hi_u32 v1, v2, v1
	s_sub_i32 s2, 0, s4
	v_mul_lo_u32 v4, s2, v3
	s_abs_i32 s2, s8
	v_cvt_f32_u32_e32 v5, s2
	v_add_u32_e32 v1, v2, v1
	buffer_store_dword v1, off, s[96:99], 0 offset:492 ; 4-byte Folded Spill
	v_mul_hi_u32 v1, v3, v4
	v_mul_lo_u32 v2, s6, v0
	v_rcp_iflag_f32_e32 v4, v5
	v_writelane_b32 v62, s4, 31
	s_ashr_i32 s3, s14, 31
	v_writelane_b32 v62, s3, 32
	v_add_u32_e32 v1, v3, v1
	s_abs_i32 s3, s9
	buffer_store_dword v1, off, s[96:99], 0 offset:496 ; 4-byte Folded Spill
	v_mul_hi_u32 v1, v0, v2
	v_cvt_f32_u32_e32 v3, s3
	s_abs_i32 s33, s10
	v_mul_f32_e32 v2, 0x4f7ffffe, v4
	v_cvt_f32_u32_e32 v4, s33
	v_rcp_iflag_f32_e32 v3, v3
	v_add_u32_e32 v0, v0, v1
	v_cvt_u32_f32_e32 v2, v2
	buffer_store_dword v0, off, s[96:99], 0 offset:500 ; 4-byte Folded Spill
	v_rcp_iflag_f32_e32 v0, v4
	v_writelane_b32 v62, s2, 33
	s_sub_i32 s2, 0, s2
	v_mul_f32_e32 v3, 0x4f7ffffe, v3
	v_mul_lo_u32 v5, s2, v2
	v_cvt_u32_f32_e32 v3, v3
	v_mul_f32_e32 v0, 0x4f7ffffe, v0
	v_cvt_u32_f32_e32 v0, v0
	s_sub_i32 s2, 0, s3
	v_mul_hi_u32 v1, v2, v5
	v_mul_lo_u32 v4, s2, v3
	s_sub_i32 s2, 0, s33
	v_mul_lo_u32 v5, s2, v0
	v_writelane_b32 v62, s3, 34
	s_ashr_i32 s2, s8, 31
	v_add_u32_e32 v1, v2, v1
	v_writelane_b32 v62, s2, 35
	buffer_store_dword v1, off, s[96:99], 0 offset:504 ; 4-byte Folded Spill
	v_mul_hi_u32 v1, v0, v5
	s_ashr_i32 s2, s9, 31
	v_writelane_b32 v62, s2, 36
	v_writelane_b32 v62, s8, 37
	;; [unrolled: 1-line block ×4, first 2 shown]
	v_add_u32_e32 v0, v0, v1
	v_writelane_b32 v62, s11, 40
	s_ashr_i32 s2, s10, 31
	buffer_store_dword v0, off, s[96:99], 0 offset:512 ; 4-byte Folded Spill
	v_cndmask_b32_e64 v0, 0, 1, s[0:1]
	v_writelane_b32 v62, s2, 41
	v_cmp_ne_u32_e64 s[0:1], 1, v0
	v_writelane_b32 v62, s0, 42
	v_mul_hi_u32 v4, v3, v4
	v_writelane_b32 v62, s1, 43
	v_writelane_b32 v62, s16, 44
	;; [unrolled: 1-line block ×4, first 2 shown]
	v_add_u32_e32 v2, v3, v4
	s_mov_b64 s[8:9], 0
	v_writelane_b32 v62, s61, 47
	buffer_store_dword v2, off, s[96:99], 0 offset:508 ; 4-byte Folded Spill
.LBB13_2:                               ; =>This Loop Header: Depth=1
                                        ;     Child Loop BB13_5 Depth 2
	buffer_load_dword v1, off, s[96:99], 0 offset:488 ; 4-byte Folded Reload
	v_sub_u32_e32 v0, 0, v6
	v_max_i32_e32 v0, v6, v0
	v_writelane_b32 v62, s8, 48
	v_writelane_b32 v62, s9, 49
	v_readlane_b32 s0, v62, 28
	v_mov_b32_e32 v9, v7
	v_mov_b32_e32 v8, v6
	v_ashrrev_i32_e32 v3, 31, v8
	v_readlane_b32 s1, v62, 27
	v_xor_b32_e32 v3, s1, v3
	v_readlane_b32 s1, v62, 30
	s_waitcnt vmcnt(0)
	v_mul_hi_u32 v1, v0, v1
	v_mul_lo_u32 v2, v1, s0
	v_add_u32_e32 v4, 1, v1
	v_sub_u32_e32 v0, v0, v2
	v_cmp_le_u32_e32 vcc, s0, v0
	v_subrev_u32_e32 v2, s0, v0
	v_cndmask_b32_e32 v1, v1, v4, vcc
	v_cndmask_b32_e32 v0, v0, v2, vcc
	v_add_u32_e32 v2, 1, v1
	v_cmp_le_u32_e32 vcc, s0, v0
	v_cndmask_b32_e32 v0, v1, v2, vcc
	buffer_load_dword v2, off, s[96:99], 0 offset:492 ; 4-byte Folded Reload
	v_xor_b32_e32 v0, v0, v3
	v_sub_u32_e32 v0, v0, v3
	v_sub_u32_e32 v1, 0, v0
	v_max_i32_e32 v1, v0, v1
	v_readlane_b32 s0, v62, 29
	v_ashrrev_i32_e32 v4, 31, v0
	v_xor_b32_e32 v4, s1, v4
	v_readlane_b32 s1, v62, 32
	s_waitcnt vmcnt(0)
	v_mul_hi_u32 v2, v1, v2
	v_mul_lo_u32 v3, v2, s0
	v_add_u32_e32 v5, 1, v2
	v_sub_u32_e32 v1, v1, v3
	v_cmp_le_u32_e32 vcc, s0, v1
	v_subrev_u32_e32 v3, s0, v1
	v_cndmask_b32_e32 v2, v2, v5, vcc
	v_cndmask_b32_e32 v1, v1, v3, vcc
	v_add_u32_e32 v3, 1, v2
	v_cmp_le_u32_e32 vcc, s0, v1
	v_cndmask_b32_e32 v1, v2, v3, vcc
	buffer_load_dword v3, off, s[96:99], 0 offset:496 ; 4-byte Folded Reload
	v_xor_b32_e32 v1, v1, v4
	v_sub_u32_e32 v1, v1, v4
	v_sub_u32_e32 v2, 0, v1
	v_max_i32_e32 v2, v1, v2
	v_readlane_b32 s0, v62, 31
	v_ashrrev_i32_e32 v6, 31, v1
	v_xor_b32_e32 v6, s1, v6
	v_mul_lo_u32 v4, v0, s16
	s_waitcnt vmcnt(0)
	v_mul_hi_u32 v3, v2, v3
	v_mul_lo_u32 v5, v3, s0
	v_add_u32_e32 v7, 1, v3
	v_sub_u32_e32 v2, v2, v5
	v_cmp_le_u32_e32 vcc, s0, v2
	v_subrev_u32_e32 v5, s0, v2
	v_cndmask_b32_e32 v3, v3, v7, vcc
	v_cndmask_b32_e32 v2, v2, v5, vcc
	v_add_u32_e32 v5, 1, v3
	v_cmp_le_u32_e32 vcc, s0, v2
	v_cndmask_b32_e32 v2, v3, v5, vcc
	buffer_load_dword v5, off, s[96:99], 0 offset:500 ; 4-byte Folded Reload
	s_nop 0
	buffer_store_dword v8, off, s[96:99], 0 offset:460 ; 4-byte Folded Spill
	s_nop 0
	buffer_store_dword v9, off, s[96:99], 0 offset:464 ; 4-byte Folded Spill
	v_xor_b32_e32 v2, v2, v6
	v_sub_u32_e32 v2, v2, v6
	v_sub_u32_e32 v3, 0, v2
	v_max_i32_e32 v3, v2, v3
	v_readlane_b32 s0, v62, 1
	v_readlane_b32 s0, v62, 0
	;; [unrolled: 1-line block ×3, first 2 shown]
	v_mul_lo_u32 v7, v2, s2
	v_readlane_b32 s2, v62, 15
	v_readlane_b32 s1, v62, 2
	;; [unrolled: 1-line block ×3, first 2 shown]
	v_sub_u32_e32 v9, v8, v4
	s_waitcnt vmcnt(2)
	v_mul_hi_u32 v5, v3, v5
	v_ashrrev_i32_e32 v8, 31, v2
	v_xor_b32_e32 v8, s2, v8
	v_mul_lo_u32 v4, v1, s3
	v_mul_lo_u32 v6, v5, s0
	v_sub_u32_e32 v3, v3, v6
	v_add_u32_e32 v6, 1, v5
	v_cmp_le_u32_e32 vcc, s0, v3
	v_cndmask_b32_e32 v5, v5, v6, vcc
	v_subrev_u32_e32 v6, s0, v3
	v_cndmask_b32_e32 v3, v3, v6, vcc
	v_add_u32_e32 v6, 1, v5
	v_cmp_le_u32_e32 vcc, s0, v3
	v_cndmask_b32_e32 v3, v5, v6, vcc
	v_xor_b32_e32 v3, v3, v8
	v_sub_u32_e32 v30, v3, v8
	v_mul_lo_u32 v3, v30, s1
	v_readlane_b32 s0, v62, 42
	v_readlane_b32 s1, v62, 43
	v_sub_u32_e32 v8, v0, v4
	v_sub_u32_e32 v6, v1, v7
	s_and_b64 vcc, exec, s[0:1]
	v_sub_u32_e32 v29, v2, v3
	s_cbranch_vccnz .LBB13_60
; %bb.3:                                ;   in Loop: Header=BB13_2 Depth=1
	buffer_load_dword v17, off, s[96:99], 0 offset:504 ; 4-byte Folded Reload
	buffer_load_dword v12, off, s[96:99], 0 offset:508 ; 4-byte Folded Reload
	;; [unrolled: 1-line block ×3, first 2 shown]
	v_readlane_b32 s84, v62, 37
	v_readlane_b32 s87, v62, 40
	buffer_store_dword v6, off, s[96:99], 0 offset:476 ; 4-byte Folded Spill
	v_add_u32_e32 v6, s87, v6
	v_sub_u32_e32 v0, 0, v6
	v_max_i32_e32 v0, v6, v0
	v_readlane_b32 s0, v62, 13
	buffer_store_dword v8, off, s[96:99], 0 offset:472 ; 4-byte Folded Spill
	v_add_u32_e32 v8, s0, v8
	v_readlane_b32 s0, v62, 33
	v_readlane_b32 s1, v62, 14
	buffer_store_dword v9, off, s[96:99], 0 offset:468 ; 4-byte Folded Spill
	v_add_u32_e32 v4, s1, v9
	v_readlane_b32 s1, v62, 34
	v_ashrrev_i32_e32 v3, 31, v6
	v_readlane_b32 s54, v62, 35
	v_xor_b32_e32 v3, s54, v3
	v_add_u32_e32 v10, -2, v8
	v_readlane_b32 s2, v62, 36
	v_readlane_b32 s6, v62, 41
	;; [unrolled: 1-line block ×8, first 2 shown]
                                        ; implicit-def: $vgpr63 : SGPR spill to VGPR lane
	v_mov_b32_e32 v59, v29
	buffer_store_dword v30, off, s[96:99], 0 offset:484 ; 4-byte Folded Spill
	v_mov_b32_e32 v60, 0
	v_mov_b32_e32 v61, 0
	s_waitcnt vmcnt(6)
	v_mul_hi_u32 v1, v0, v17
	v_mul_lo_u32 v2, v1, s0
	v_add_u32_e32 v5, 1, v1
	v_sub_u32_e32 v0, v0, v2
	v_cmp_le_u32_e32 vcc, s0, v0
	v_cndmask_b32_e32 v1, v1, v5, vcc
	v_sub_u32_e32 v5, 0, v8
	v_max_i32_e32 v7, v8, v5
	s_waitcnt vmcnt(5)
	v_mul_hi_u32 v9, v7, v12
	v_subrev_u32_e32 v2, s0, v0
	v_cndmask_b32_e32 v0, v0, v2, vcc
	v_add_u32_e32 v2, 1, v1
	v_cmp_le_u32_e32 vcc, s0, v0
	v_cndmask_b32_e32 v0, v1, v2, vcc
	v_mul_lo_u32 v1, v9, s1
	v_add_u32_e32 v2, 1, v9
	v_xor_b32_e32 v0, v0, v3
	v_sub_u32_e32 v5, v0, v3
	v_sub_u32_e32 v1, v7, v1
	;; [unrolled: 1-line block ×3, first 2 shown]
	v_cmp_le_u32_e32 vcc, s1, v1
	v_max_i32_e32 v7, v4, v7
	v_cndmask_b32_e32 v2, v9, v2, vcc
	s_waitcnt vmcnt(4)
	v_mul_hi_u32 v9, v7, v20
	v_subrev_u32_e32 v3, s1, v1
	v_cndmask_b32_e32 v1, v1, v3, vcc
	v_add_u32_e32 v3, 1, v2
	v_cmp_le_u32_e32 vcc, s1, v1
	v_cndmask_b32_e32 v1, v2, v3, vcc
	v_mul_lo_u32 v2, v9, s33
	v_add_u32_e32 v3, 1, v9
	v_ashrrev_i32_e32 v0, 31, v8
	v_xor_b32_e32 v0, s2, v0
	v_sub_u32_e32 v2, v7, v2
	v_cmp_le_u32_e32 vcc, s33, v2
	v_subrev_u32_e32 v7, s33, v2
	v_cndmask_b32_e32 v2, v2, v7, vcc
	v_sub_u32_e32 v7, 2, v8
	v_max_i32_e32 v7, v10, v7
	v_cndmask_b32_e32 v3, v9, v3, vcc
	v_mul_hi_u32 v9, v7, v12
	v_add_u32_e32 v11, 1, v3
	v_cmp_le_u32_e32 vcc, s33, v2
	v_cndmask_b32_e32 v2, v3, v11, vcc
	v_mul_lo_u32 v3, v9, s1
	v_add_u32_e32 v11, -1, v8
	v_xor_b32_e32 v1, v1, v0
	v_sub_u32_e32 v1, v1, v0
	v_sub_u32_e32 v3, v7, v3
	v_add_u32_e32 v7, 1, v9
	v_cmp_le_u32_e32 vcc, s1, v3
	v_cndmask_b32_e32 v7, v9, v7, vcc
	v_subrev_u32_e32 v9, s1, v3
	v_cndmask_b32_e32 v3, v3, v9, vcc
	v_sub_u32_e32 v9, 1, v8
	v_max_i32_e32 v9, v11, v9
	v_mul_hi_u32 v12, v9, v12
	v_ashrrev_i32_e32 v0, 31, v4
	v_xor_b32_e32 v0, s6, v0
	v_add_u32_e32 v13, 1, v7
	v_cmp_le_u32_e32 vcc, s1, v3
	v_xor_b32_e32 v2, v2, v0
	v_cndmask_b32_e32 v3, v7, v13, vcc
	v_mul_lo_u32 v13, v12, s1
	v_sub_u32_e32 v0, v2, v0
	v_ashrrev_i32_e32 v2, 31, v10
	v_xor_b32_e32 v2, s2, v2
	v_xor_b32_e32 v3, v3, v2
	v_sub_u32_e32 v7, v3, v2
	v_sub_u32_e32 v2, v9, v13
	v_cmp_le_u32_e32 vcc, s1, v2
	v_subrev_u32_e32 v9, s1, v2
	v_add_u32_e32 v3, 1, v12
	v_cndmask_b32_e32 v2, v2, v9, vcc
	v_add_u32_e32 v13, -2, v6
	v_sub_u32_e32 v9, 2, v6
	v_cndmask_b32_e32 v3, v12, v3, vcc
	v_max_i32_e32 v12, v13, v9
	v_mul_hi_u32 v14, v12, v17
	v_add_u32_e32 v9, 1, v3
	v_ashrrev_i32_e32 v15, 31, v11
	v_cmp_le_u32_e32 vcc, s1, v2
	v_mul_lo_u32 v16, v14, s0
	v_xor_b32_e32 v15, s2, v15
	v_cndmask_b32_e32 v2, v3, v9, vcc
	v_xor_b32_e32 v2, v2, v15
	v_sub_u32_e32 v9, v2, v15
	v_sub_u32_e32 v2, v12, v16
	v_add_u32_e32 v16, -1, v6
	v_sub_u32_e32 v12, 1, v6
	v_max_i32_e32 v12, v16, v12
	v_mul_hi_u32 v15, v12, v17
	v_add_u32_e32 v3, 1, v14
	v_cmp_le_u32_e32 vcc, s0, v2
	v_cndmask_b32_e32 v3, v14, v3, vcc
	v_subrev_u32_e32 v14, s0, v2
	v_cndmask_b32_e32 v2, v2, v14, vcc
	v_mul_lo_u32 v14, v15, s0
	v_add_u32_e32 v17, 1, v3
	v_cmp_le_u32_e32 vcc, s0, v2
	v_cndmask_b32_e32 v2, v3, v17, vcc
	v_sub_u32_e32 v3, v12, v14
	v_add_u32_e32 v12, 1, v15
	v_cmp_le_u32_e32 vcc, s0, v3
	v_subrev_u32_e32 v14, s0, v3
	v_cndmask_b32_e32 v12, v15, v12, vcc
	v_cndmask_b32_e32 v3, v3, v14, vcc
	v_add_u32_e32 v14, 1, v12
	v_cmp_le_u32_e32 vcc, s0, v3
	v_cndmask_b32_e32 v3, v12, v14, vcc
	v_add_u32_e32 v17, -1, v4
	v_sub_u32_e32 v14, 1, v4
	v_max_i32_e32 v15, v17, v14
	v_mul_hi_u32 v18, v15, v20
	v_ashrrev_i32_e32 v12, 31, v16
	v_xor_b32_e32 v12, s54, v12
	v_xor_b32_e32 v3, v3, v12
	v_sub_u32_e32 v14, v3, v12
	v_mul_lo_u32 v12, v18, s33
	v_or_b32_e32 v3, v0, v1
	v_or_b32_e32 v19, v3, v5
	v_cmp_lt_i32_e32 vcc, -1, v19
	v_sub_u32_e32 v12, v15, v12
	v_add_u32_e32 v15, 1, v18
	v_cmp_le_u32_e64 s[2:3], s33, v12
	v_cndmask_b32_e64 v15, v18, v15, s[2:3]
	v_subrev_u32_e32 v18, s33, v12
	v_cndmask_b32_e64 v12, v12, v18, s[2:3]
	v_add_u32_e32 v18, 1, v15
	v_cmp_le_u32_e64 s[2:3], s33, v12
	v_cndmask_b32_e64 v12, v15, v18, s[2:3]
	v_add_u32_e32 v18, -2, v4
	v_sub_u32_e32 v19, 2, v4
	v_max_i32_e32 v19, v18, v19
	v_mul_hi_u32 v20, v19, v20
	v_ashrrev_i32_e32 v15, 31, v17
	v_xor_b32_e32 v15, s6, v15
	v_xor_b32_e32 v12, v12, v15
	v_sub_u32_e32 v12, v12, v15
	v_mul_lo_u32 v15, v20, s33
	v_cmp_gt_i32_e64 s[30:31], s62, v1
	v_cmp_gt_i32_e64 s[34:35], s63, v0
	;; [unrolled: 1-line block ×3, first 2 shown]
	v_sub_u32_e32 v15, v19, v15
	v_add_u32_e32 v19, 1, v20
	v_cmp_le_u32_e64 s[4:5], s33, v15
	v_cndmask_b32_e64 v19, v20, v19, s[4:5]
	v_subrev_u32_e32 v20, s33, v15
	v_cndmask_b32_e64 v15, v15, v20, s[4:5]
	v_add_u32_e32 v20, 1, v19
	v_cmp_le_u32_e64 s[4:5], s33, v15
	v_cndmask_b32_e64 v15, v19, v20, s[4:5]
	v_ashrrev_i32_e32 v19, 31, v18
	v_xor_b32_e32 v19, s6, v19
	v_xor_b32_e32 v15, v15, v19
	v_sub_u32_e32 v15, v15, v19
	v_cmp_gt_i32_e64 s[38:39], s63, v15
	s_and_b64 s[52:53], s[34:35], s[30:31]
	s_and_b64 s[50:51], s[36:37], s[30:31]
	;; [unrolled: 1-line block ×3, first 2 shown]
	v_cmp_gt_i32_e64 s[30:31], s62, v9
	v_or_b32_e32 v22, v12, v1
	s_and_b64 s[46:47], s[34:35], s[30:31]
	s_and_b64 s[44:45], s[36:37], s[30:31]
	;; [unrolled: 1-line block ×3, first 2 shown]
	v_cmp_gt_i32_e64 s[30:31], s62, v7
	v_or_b32_e32 v21, v22, v5
	s_and_b64 s[40:41], s[34:35], s[30:31]
	s_and_b64 s[34:35], s[36:37], s[30:31]
	;; [unrolled: 1-line block ×3, first 2 shown]
	v_cmp_gt_i32_e64 s[30:31], s61, v5
	s_and_b64 s[36:37], s[52:53], vcc
	v_cmp_lt_i32_e64 s[2:3], -1, v21
	s_and_b64 s[36:37], s[36:37], s[30:31]
	v_or_b32_e32 v25, v15, v1
	v_writelane_b32 v62, s36, 50
	s_and_b64 s[2:3], s[50:51], s[2:3]
	v_or_b32_e32 v19, v25, v5
	v_writelane_b32 v62, s37, 51
	s_and_b64 s[2:3], s[2:3], s[30:31]
	v_cmp_lt_i32_e64 s[4:5], -1, v19
	v_writelane_b32 v62, s2, 52
	v_or_b32_e32 v23, v0, v9
	v_writelane_b32 v62, s3, 53
	s_and_b64 s[2:3], s[48:49], s[4:5]
	v_or_b32_e32 v19, v23, v5
	s_and_b64 s[2:3], s[2:3], s[30:31]
	v_cmp_lt_i32_e64 s[6:7], -1, v19
	v_writelane_b32 v62, s2, 54
	v_or_b32_e32 v26, v12, v9
	v_writelane_b32 v62, s3, 55
	s_and_b64 s[2:3], s[46:47], s[6:7]
	v_or_b32_e32 v19, v26, v5
	;; [unrolled: 7-line block ×6, first 2 shown]
	s_and_b64 s[2:3], s[2:3], s[30:31]
	v_cmp_lt_i32_e64 s[16:17], -1, v27
	v_writelane_b32 v63, s2, 0
	v_writelane_b32 v63, s3, 1
	s_and_b64 s[2:3], s[0:1], s[16:17]
	v_or_b32_e32 v27, v3, v14
	s_and_b64 s[2:3], s[2:3], s[30:31]
	v_cmp_lt_i32_e64 s[18:19], -1, v27
	v_writelane_b32 v63, s2, 2
	v_writelane_b32 v63, s3, 3
	v_cmp_gt_i32_e64 s[2:3], s61, v14
	s_and_b64 s[4:5], s[52:53], s[18:19]
	v_or_b32_e32 v27, v22, v14
	s_and_b64 s[4:5], s[4:5], s[2:3]
	v_cmp_lt_i32_e64 s[20:21], -1, v27
	v_or_b32_e32 v27, v25, v14
	v_writelane_b32 v63, s4, 4
	v_cmp_lt_i32_e64 s[22:23], -1, v27
	v_writelane_b32 v63, s5, 5
	s_and_b64 s[4:5], s[50:51], s[20:21]
	s_and_b64 s[58:59], s[4:5], s[2:3]
	s_and_b64 s[4:5], s[48:49], s[22:23]
	v_or_b32_e32 v27, v23, v14
	s_and_b64 s[4:5], s[4:5], s[2:3]
	v_cmp_lt_i32_e64 s[24:25], -1, v27
	v_or_b32_e32 v27, v26, v14
	v_writelane_b32 v63, s4, 6
	v_cmp_lt_i32_e64 s[26:27], -1, v27
	v_or_b32_e32 v27, v24, v14
	v_writelane_b32 v63, s5, 7
	s_and_b64 s[4:5], s[46:47], s[24:25]
	v_cmp_lt_i32_e64 s[28:29], -1, v27
	v_or_b32_e32 v27, v19, v14
	s_and_b64 s[72:73], s[4:5], s[2:3]
	s_and_b64 s[4:5], s[44:45], s[26:27]
	v_cmp_lt_i32_e32 vcc, -1, v27
	v_or_b32_e32 v27, v20, v14
	s_and_b64 s[74:75], s[4:5], s[2:3]
	s_and_b64 s[4:5], s[42:43], s[28:29]
	;; [unrolled: 1-line block ×3, first 2 shown]
	s_and_b64 s[4:5], s[40:41], vcc
	v_cmp_lt_i32_e32 vcc, -1, v27
	v_ashrrev_i32_e32 v27, 31, v13
	v_xor_b32_e32 v27, s54, v27
	v_xor_b32_e32 v2, v2, v27
	v_or_b32_e32 v28, v21, v14
	v_sub_u32_e32 v27, v2, v27
	s_and_b64 s[70:71], s[4:5], s[2:3]
	s_and_b64 s[4:5], s[34:35], vcc
	v_cmp_lt_i32_e32 vcc, -1, v28
	v_or_b32_e32 v2, v3, v27
	s_and_b64 s[88:89], s[4:5], s[2:3]
	s_and_b64 s[4:5], s[0:1], vcc
	v_cmp_lt_i32_e32 vcc, -1, v2
	v_or_b32_e32 v2, v22, v27
	v_readlane_b32 s60, v62, 16
	s_and_b64 s[8:9], s[52:53], vcc
	v_cmp_lt_i32_e32 vcc, -1, v2
	v_or_b32_e32 v2, v25, v27
	v_mul_lo_u32 v42, v59, s60
	s_and_b64 s[10:11], s[50:51], vcc
	v_cmp_lt_i32_e32 vcc, -1, v2
	v_or_b32_e32 v2, v23, v27
	s_and_b64 s[12:13], s[48:49], vcc
	v_cmp_lt_i32_e32 vcc, -1, v2
	v_or_b32_e32 v2, v26, v27
	s_and_b64 s[64:65], s[4:5], s[2:3]
	s_and_b64 s[14:15], s[46:47], vcc
	v_cmp_lt_i32_e32 vcc, -1, v2
	v_or_b32_e32 v2, v24, v27
	v_readlane_b32 s2, v62, 17
	s_and_b64 s[16:17], s[44:45], vcc
	v_cmp_lt_i32_e32 vcc, -1, v2
	v_mul_lo_u32 v2, s2, v42
	v_readlane_b32 s2, v62, 46
	v_mul_lo_u32 v22, s2, v30
	v_readlane_b32 s4, v62, 20
	v_ashrrev_i32_e32 v3, 31, v2
	v_lshlrev_b64 v[2:3], 3, v[2:3]
	v_readlane_b32 s5, v62, 21
	s_and_b64 s[18:19], s[42:43], vcc
	v_mov_b32_e32 v23, s5
	v_add_co_u32_e32 v2, vcc, s4, v2
	v_readlane_b32 s3, v62, 47
	v_addc_co_u32_e32 v3, vcc, v23, v3, vcc
	v_ashrrev_i32_e32 v23, 31, v22
	v_readlane_b32 s2, v62, 7
	v_mul_lo_u32 v25, v5, s84
	v_lshlrev_b64 v[22:23], 3, v[22:23]
	v_readlane_b32 s3, v62, 8
	v_mov_b32_e32 v24, s3
	v_mul_lo_u32 v26, v1, s85
	v_mul_lo_u32 v28, v9, s85
	;; [unrolled: 1-line block ×3, first 2 shown]
	v_add_co_u32_e32 v22, vcc, s2, v22
	v_mul_lo_u32 v30, v14, s84
	buffer_store_dword v22, off, s[96:99], 0 offset:232 ; 4-byte Folded Spill
	v_addc_co_u32_e32 v22, vcc, v24, v23, vcc
	v_cmp_eq_u32_e32 vcc, v25, v6
	v_mul_lo_u32 v6, v27, s84
	v_cmp_eq_u32_e64 s[2:3], v26, v8
	v_cmp_eq_u32_e64 s[4:5], v28, v11
	v_cmp_eq_u32_e64 s[6:7], v29, v10
	s_and_b64 s[20:21], vcc, s[2:3]
	s_and_b64 s[22:23], vcc, s[4:5]
	;; [unrolled: 1-line block ×3, first 2 shown]
	v_cmp_eq_u32_e32 vcc, v30, v16
	s_and_b64 s[26:27], vcc, s[2:3]
	s_and_b64 s[30:31], vcc, s[4:5]
	s_and_b64 s[38:39], vcc, s[6:7]
	v_cmp_eq_u32_e32 vcc, v6, v13
	v_or_b32_e32 v6, v19, v27
	s_and_b64 s[44:45], vcc, s[2:3]
	s_and_b64 s[50:51], vcc, s[4:5]
	s_and_b64 s[84:85], vcc, s[6:7]
	v_cmp_lt_i32_e32 vcc, -1, v6
	v_or_b32_e32 v6, v20, v27
	s_and_b64 s[2:3], s[40:41], vcc
	v_cmp_lt_i32_e32 vcc, -1, v6
	v_or_b32_e32 v6, v21, v27
	s_and_b64 s[4:5], s[34:35], vcc
	v_cmp_lt_i32_e32 vcc, -1, v6
	v_mul_lo_u32 v6, v0, s86
	s_and_b64 s[6:7], s[0:1], vcc
	v_cmp_gt_i32_e32 vcc, s61, v27
	s_and_b64 s[66:67], s[8:9], vcc
	s_and_b64 s[82:83], s[10:11], vcc
	;; [unrolled: 1-line block ×9, first 2 shown]
	v_cmp_eq_u32_e32 vcc, v6, v4
	v_mul_lo_u32 v6, v5, s62
	v_mul_lo_u32 v8, v12, s86
	;; [unrolled: 1-line block ×3, first 2 shown]
	buffer_store_dword v22, off, s[96:99], 0 offset:236 ; 4-byte Folded Spill
	v_add_u32_e32 v4, v1, v6
	v_cmp_eq_u32_e64 s[54:55], v8, v17
	v_mul_lo_u32 v8, v4, s63
	v_cmp_eq_u32_e64 s[56:57], v10, v18
	v_add_u32_e32 v11, v9, v6
	v_mul_lo_u32 v13, v11, s63
	v_add_u32_e32 v4, v0, v8
	v_ashrrev_i32_e32 v5, 31, v4
	v_lshlrev_b64 v[4:5], 3, v[4:5]
	v_add_u32_e32 v10, v12, v8
	v_ashrrev_i32_e32 v11, 31, v10
	buffer_store_dword v4, off, s[96:99], 0 offset:244 ; 4-byte Folded Spill
	s_nop 0
	buffer_store_dword v5, off, s[96:99], 0 offset:248 ; 4-byte Folded Spill
	v_lshlrev_b64 v[4:5], 3, v[10:11]
	v_add_u32_e32 v16, v15, v8
	v_ashrrev_i32_e32 v17, 31, v16
	buffer_store_dword v4, off, s[96:99], 0 offset:252 ; 4-byte Folded Spill
	s_nop 0
	buffer_store_dword v5, off, s[96:99], 0 offset:256 ; 4-byte Folded Spill
	v_lshlrev_b64 v[4:5], 3, v[16:17]
	v_add_u32_e32 v18, v0, v13
	v_ashrrev_i32_e32 v19, 31, v18
	buffer_store_dword v4, off, s[96:99], 0 offset:260 ; 4-byte Folded Spill
	s_nop 0
	buffer_store_dword v5, off, s[96:99], 0 offset:264 ; 4-byte Folded Spill
	v_lshlrev_b64 v[4:5], 3, v[18:19]
	v_add_u32_e32 v20, v12, v13
	v_ashrrev_i32_e32 v21, 31, v20
	v_add_u32_e32 v6, v7, v6
	buffer_store_dword v4, off, s[96:99], 0 offset:268 ; 4-byte Folded Spill
	s_nop 0
	buffer_store_dword v5, off, s[96:99], 0 offset:272 ; 4-byte Folded Spill
	v_mul_lo_u32 v6, v6, s63
	v_lshlrev_b64 v[4:5], 3, v[20:21]
	v_add_u32_e32 v22, v15, v13
	v_ashrrev_i32_e32 v23, 31, v22
	buffer_store_dword v4, off, s[96:99], 0 offset:276 ; 4-byte Folded Spill
	s_nop 0
	buffer_store_dword v5, off, s[96:99], 0 offset:280 ; 4-byte Folded Spill
	v_mul_lo_u32 v8, v14, s62
	v_lshlrev_b64 v[4:5], 3, v[22:23]
	v_add_u32_e32 v13, v0, v6
	v_ashrrev_i32_e32 v14, 31, v13
	buffer_store_dword v4, off, s[96:99], 0 offset:284 ; 4-byte Folded Spill
	s_nop 0
	buffer_store_dword v5, off, s[96:99], 0 offset:288 ; 4-byte Folded Spill
	v_lshlrev_b64 v[4:5], 3, v[13:14]
	v_add_u32_e32 v24, v12, v6
	v_add_u32_e32 v25, v1, v8
	v_mul_lo_u32 v26, v25, s63
	v_ashrrev_i32_e32 v25, 31, v24
	buffer_store_dword v4, off, s[96:99], 0 offset:292 ; 4-byte Folded Spill
	s_nop 0
	buffer_store_dword v5, off, s[96:99], 0 offset:296 ; 4-byte Folded Spill
	v_lshlrev_b64 v[4:5], 3, v[24:25]
	v_add_u32_e32 v28, v15, v6
	v_ashrrev_i32_e32 v29, 31, v28
	buffer_store_dword v4, off, s[96:99], 0 offset:300 ; 4-byte Folded Spill
	s_nop 0
	buffer_store_dword v5, off, s[96:99], 0 offset:304 ; 4-byte Folded Spill
	v_lshlrev_b64 v[4:5], 3, v[28:29]
	v_add_u32_e32 v30, v0, v26
	;; [unrolled: 6-line block ×3, first 2 shown]
	v_add_u32_e32 v6, v9, v8
	v_ashrrev_i32_e32 v33, 31, v32
	buffer_store_dword v4, off, s[96:99], 0 offset:316 ; 4-byte Folded Spill
	s_nop 0
	buffer_store_dword v5, off, s[96:99], 0 offset:320 ; 4-byte Folded Spill
	v_mul_lo_u32 v6, v6, s63
	v_lshlrev_b64 v[4:5], 3, v[32:33]
	v_add_u32_e32 v34, v15, v26
	v_ashrrev_i32_e32 v35, 31, v34
	buffer_store_dword v4, off, s[96:99], 0 offset:324 ; 4-byte Folded Spill
	s_nop 0
	buffer_store_dword v5, off, s[96:99], 0 offset:328 ; 4-byte Folded Spill
	v_lshlrev_b64 v[4:5], 3, v[34:35]
	v_add_u32_e32 v36, v0, v6
	v_ashrrev_i32_e32 v37, 31, v36
	buffer_store_dword v4, off, s[96:99], 0 offset:332 ; 4-byte Folded Spill
	s_nop 0
	buffer_store_dword v5, off, s[96:99], 0 offset:336 ; 4-byte Folded Spill
	v_lshlrev_b64 v[4:5], 3, v[36:37]
	v_add_u32_e32 v38, v12, v6
	v_ashrrev_i32_e32 v39, 31, v38
	v_add_u32_e32 v8, v7, v8
	buffer_store_dword v4, off, s[96:99], 0 offset:340 ; 4-byte Folded Spill
	s_nop 0
	buffer_store_dword v5, off, s[96:99], 0 offset:344 ; 4-byte Folded Spill
	v_mul_lo_u32 v8, v8, s63
	v_lshlrev_b64 v[4:5], 3, v[38:39]
	v_add_u32_e32 v40, v15, v6
	v_ashrrev_i32_e32 v41, 31, v40
	buffer_store_dword v4, off, s[96:99], 0 offset:348 ; 4-byte Folded Spill
	s_nop 0
	buffer_store_dword v5, off, s[96:99], 0 offset:352 ; 4-byte Folded Spill
	v_lshlrev_b64 v[4:5], 3, v[40:41]
	v_mul_lo_u32 v6, v27, s62
	v_add_u32_e32 v26, v0, v8
	v_ashrrev_i32_e32 v27, 31, v26
	buffer_store_dword v4, off, s[96:99], 0 offset:356 ; 4-byte Folded Spill
	s_nop 0
	buffer_store_dword v5, off, s[96:99], 0 offset:360 ; 4-byte Folded Spill
	v_lshlrev_b64 v[4:5], 3, v[26:27]
	v_add_u32_e32 v43, v12, v8
	v_add_u32_e32 v1, v1, v6
	v_ashrrev_i32_e32 v44, 31, v43
	buffer_store_dword v4, off, s[96:99], 0 offset:364 ; 4-byte Folded Spill
	s_nop 0
	buffer_store_dword v5, off, s[96:99], 0 offset:368 ; 4-byte Folded Spill
	v_mul_lo_u32 v1, v1, s63
	v_lshlrev_b64 v[4:5], 3, v[43:44]
	v_add_u32_e32 v45, v15, v8
	v_ashrrev_i32_e32 v46, 31, v45
	buffer_store_dword v4, off, s[96:99], 0 offset:372 ; 4-byte Folded Spill
	s_nop 0
	buffer_store_dword v5, off, s[96:99], 0 offset:376 ; 4-byte Folded Spill
	v_lshlrev_b64 v[4:5], 3, v[45:46]
	v_add_u32_e32 v47, v0, v1
	v_ashrrev_i32_e32 v48, 31, v47
	buffer_store_dword v4, off, s[96:99], 0 offset:380 ; 4-byte Folded Spill
	s_nop 0
	buffer_store_dword v5, off, s[96:99], 0 offset:384 ; 4-byte Folded Spill
	v_lshlrev_b64 v[4:5], 3, v[47:48]
	v_add_u32_e32 v49, v12, v1
	v_ashrrev_i32_e32 v50, 31, v49
	v_add_u32_e32 v8, v9, v6
	buffer_store_dword v4, off, s[96:99], 0 offset:388 ; 4-byte Folded Spill
	s_nop 0
	buffer_store_dword v5, off, s[96:99], 0 offset:392 ; 4-byte Folded Spill
	v_mul_lo_u32 v53, v8, s63
	v_lshlrev_b64 v[4:5], 3, v[49:50]
	v_add_u32_e32 v51, v7, v6
	v_add_u32_e32 v6, v15, v1
	v_ashrrev_i32_e32 v7, 31, v6
	buffer_store_dword v4, off, s[96:99], 0 offset:396 ; 4-byte Folded Spill
	s_nop 0
	buffer_store_dword v5, off, s[96:99], 0 offset:400 ; 4-byte Folded Spill
	v_lshlrev_b64 v[4:5], 3, v[6:7]
	v_add_u32_e32 v8, v0, v53
	v_ashrrev_i32_e32 v9, 31, v8
	buffer_store_dword v4, off, s[96:99], 0 offset:404 ; 4-byte Folded Spill
	s_nop 0
	buffer_store_dword v5, off, s[96:99], 0 offset:408 ; 4-byte Folded Spill
	v_mul_lo_u32 v57, v51, s63
	v_lshlrev_b64 v[4:5], 3, v[8:9]
	v_add_u32_e32 v51, v12, v53
	v_ashrrev_i32_e32 v52, 31, v51
	buffer_store_dword v4, off, s[96:99], 0 offset:412 ; 4-byte Folded Spill
	s_nop 0
	buffer_store_dword v5, off, s[96:99], 0 offset:416 ; 4-byte Folded Spill
	v_lshlrev_b64 v[4:5], 3, v[51:52]
	v_add_u32_e32 v53, v15, v53
	v_add_u32_e32 v0, v0, v57
	v_ashrrev_i32_e32 v54, 31, v53
	v_ashrrev_i32_e32 v1, 31, v0
	buffer_store_dword v4, off, s[96:99], 0 offset:420 ; 4-byte Folded Spill
	s_nop 0
	buffer_store_dword v5, off, s[96:99], 0 offset:424 ; 4-byte Folded Spill
	v_lshlrev_b64 v[4:5], 3, v[53:54]
	v_lshlrev_b64 v[0:1], 3, v[0:1]
	v_add_u32_e32 v55, v12, v57
	v_ashrrev_i32_e32 v56, 31, v55
	buffer_store_dword v4, off, s[96:99], 0 offset:428 ; 4-byte Folded Spill
	s_nop 0
	buffer_store_dword v5, off, s[96:99], 0 offset:432 ; 4-byte Folded Spill
	buffer_store_dword v0, off, s[96:99], 0 offset:436 ; 4-byte Folded Spill
	s_nop 0
	buffer_store_dword v1, off, s[96:99], 0 offset:440 ; 4-byte Folded Spill
	v_lshlrev_b64 v[0:1], 3, v[55:56]
	v_add_u32_e32 v57, v15, v57
	v_readlane_b32 s62, v62, 46
	v_ashrrev_i32_e32 v58, 31, v57
	buffer_store_dword v0, off, s[96:99], 0 offset:444 ; 4-byte Folded Spill
	s_nop 0
	buffer_store_dword v1, off, s[96:99], 0 offset:448 ; 4-byte Folded Spill
	v_readlane_b32 s63, v62, 47
	s_and_b64 s[2:3], s[20:21], vcc
	s_and_b64 s[4:5], s[20:21], s[54:55]
	s_and_b64 s[6:7], s[20:21], s[56:57]
	s_and_b64 s[8:9], s[22:23], vcc
	s_and_b64 s[10:11], s[22:23], s[54:55]
	s_and_b64 s[12:13], s[22:23], s[56:57]
	;; [unrolled: 3-line block ×9, first 2 shown]
	v_lshlrev_b64 v[0:1], 3, v[57:58]
	s_mul_i32 s84, s63, s60
	v_mul_lo_u32 v58, s84, v59
	buffer_store_dword v0, off, s[96:99], 0 offset:452 ; 4-byte Folded Spill
	s_nop 0
	buffer_store_dword v1, off, s[96:99], 0 offset:456 ; 4-byte Folded Spill
	v_add_u32_e32 v0, s60, v42
	v_readlane_b32 s62, v62, 50
	v_readlane_b32 s60, v62, 46
	s_mov_b64 s[86:87], 0
	v_readlane_b32 s63, v62, 51
	v_readlane_b32 s61, v62, 47
	buffer_store_dword v0, off, s[96:99], 0 offset:240 ; 4-byte Folded Spill
	buffer_store_dword v59, off, s[96:99], 0 offset:480 ; 4-byte Folded Spill
	s_branch .LBB13_5
.LBB13_4:                               ;   in Loop: Header=BB13_5 Depth=2
	s_or_b64 exec, exec, s[84:85]
	buffer_load_dword v22, off, s[96:99], 0 ; 4-byte Folded Reload
	buffer_load_dword v23, off, s[96:99], 0 offset:4 ; 4-byte Folded Reload
	buffer_load_dword v48, off, s[96:99], 0 offset:80 ; 4-byte Folded Reload
	buffer_load_dword v49, off, s[96:99], 0 offset:84 ; 4-byte Folded Reload
	v_add_co_u32_e32 v2, vcc, 0xd8, v2
	v_add_u32_e32 v42, 1, v42
	v_addc_co_u32_e32 v3, vcc, 0, v3, vcc
	v_add_u32_e32 v58, s61, v58
	s_waitcnt vmcnt(0)
	v_fma_f64 v[22:23], v[48:49], v[22:23], v[60:61]
	buffer_load_dword v48, off, s[96:99], 0 offset:88 ; 4-byte Folded Reload
	buffer_load_dword v49, off, s[96:99], 0 offset:92 ; 4-byte Folded Reload
	v_cndmask_b32_e64 v23, v61, v23, s[2:3]
	v_cndmask_b32_e64 v22, v60, v22, s[2:3]
	s_waitcnt vmcnt(0)
	v_fma_f64 v[59:60], v[48:49], v[28:29], v[22:23]
	buffer_load_dword v28, off, s[96:99], 0 offset:96 ; 4-byte Folded Reload
	buffer_load_dword v29, off, s[96:99], 0 offset:100 ; 4-byte Folded Reload
	v_cndmask_b32_e64 v23, v23, v60, s[4:5]
	v_cndmask_b32_e64 v22, v22, v59, s[4:5]
	s_waitcnt vmcnt(0)
	v_fma_f64 v[59:60], v[28:29], v[50:51], v[22:23]
	buffer_load_dword v28, off, s[96:99], 0 offset:104 ; 4-byte Folded Reload
	buffer_load_dword v29, off, s[96:99], 0 offset:108 ; 4-byte Folded Reload
	;; [unrolled: 1-line block ×4, first 2 shown]
	v_cndmask_b32_e64 v23, v23, v60, s[6:7]
	v_cndmask_b32_e64 v22, v22, v59, s[6:7]
	s_waitcnt vmcnt(0)
	v_fma_f64 v[59:60], v[28:29], v[48:49], v[22:23]
	buffer_load_dword v28, off, s[96:99], 0 offset:112 ; 4-byte Folded Reload
	buffer_load_dword v29, off, s[96:99], 0 offset:116 ; 4-byte Folded Reload
	v_cndmask_b32_e64 v23, v23, v60, s[8:9]
	v_cndmask_b32_e64 v22, v22, v59, s[8:9]
	s_waitcnt vmcnt(0)
	v_fma_f64 v[59:60], v[28:29], v[8:9], v[22:23]
	buffer_load_dword v8, off, s[96:99], 0 offset:120 ; 4-byte Folded Reload
	buffer_load_dword v9, off, s[96:99], 0 offset:124 ; 4-byte Folded Reload
	buffer_load_dword v28, off, s[96:99], 0 offset:24 ; 4-byte Folded Reload
	buffer_load_dword v29, off, s[96:99], 0 offset:28 ; 4-byte Folded Reload
	v_cndmask_b32_e64 v23, v23, v60, s[10:11]
	v_cndmask_b32_e64 v22, v22, v59, s[10:11]
	s_waitcnt vmcnt(0)
	v_fma_f64 v[59:60], v[8:9], v[28:29], v[22:23]
	buffer_load_dword v8, off, s[96:99], 0 offset:16 ; 4-byte Folded Reload
	buffer_load_dword v9, off, s[96:99], 0 offset:20 ; 4-byte Folded Reload
	;; [unrolled: 8-line block ×9, first 2 shown]
	v_cndmask_b32_e64 v23, v23, v49, s[26:27]
	v_cndmask_b32_e64 v22, v22, v48, s[26:27]
	s_waitcnt vmcnt(0)
	v_fma_f64 v[0:1], v[8:9], v[0:1], v[22:23]
	buffer_load_dword v8, off, s[96:99], 0 offset:192 ; 4-byte Folded Reload
	buffer_load_dword v9, off, s[96:99], 0 offset:196 ; 4-byte Folded Reload
	v_cndmask_b32_e64 v1, v23, v1, s[28:29]
	v_cndmask_b32_e64 v0, v22, v0, s[28:29]
	s_waitcnt vmcnt(0)
	v_fma_f64 v[22:23], v[8:9], v[56:57], v[0:1]
	buffer_load_dword v8, off, s[96:99], 0 offset:200 ; 4-byte Folded Reload
	buffer_load_dword v9, off, s[96:99], 0 offset:204 ; 4-byte Folded Reload
	v_cndmask_b32_e64 v1, v1, v23, s[30:31]
	v_cndmask_b32_e64 v0, v0, v22, s[30:31]
	s_waitcnt vmcnt(0)
	v_fma_f64 v[20:21], v[8:9], v[20:21], v[0:1]
	buffer_load_dword v8, off, s[96:99], 0 offset:208 ; 4-byte Folded Reload
	buffer_load_dword v9, off, s[96:99], 0 offset:212 ; 4-byte Folded Reload
	v_cndmask_b32_e64 v1, v1, v21, s[34:35]
	v_cndmask_b32_e64 v0, v0, v20, s[34:35]
	s_waitcnt vmcnt(0)
	v_fma_f64 v[14:15], v[8:9], v[14:15], v[0:1]
	buffer_load_dword v8, off, s[96:99], 0 offset:216 ; 4-byte Folded Reload
	buffer_load_dword v9, off, s[96:99], 0 offset:220 ; 4-byte Folded Reload
	v_cndmask_b32_e64 v1, v1, v15, s[36:37]
	v_cndmask_b32_e64 v0, v0, v14, s[36:37]
	s_waitcnt vmcnt(0)
	v_fma_f64 v[4:5], v[8:9], v[4:5], v[0:1]
	v_cndmask_b32_e64 v1, v1, v5, s[38:39]
	v_cndmask_b32_e64 v0, v0, v4, s[38:39]
	buffer_load_dword v4, off, s[96:99], 0 offset:224 ; 4-byte Folded Reload
	buffer_load_dword v5, off, s[96:99], 0 offset:228 ; 4-byte Folded Reload
	s_waitcnt vmcnt(0)
	v_fma_f64 v[4:5], v[4:5], v[30:31], v[0:1]
	v_cndmask_b32_e64 v1, v1, v5, s[40:41]
	v_cndmask_b32_e64 v0, v0, v4, s[40:41]
	v_fma_f64 v[4:5], v[36:37], v[38:39], v[0:1]
	v_cndmask_b32_e64 v1, v1, v5, s[42:43]
	v_cndmask_b32_e64 v0, v0, v4, s[42:43]
	;; [unrolled: 3-line block ×8, first 2 shown]
	v_fma_f64 v[4:5], v[12:13], v[6:7], v[0:1]
	buffer_load_dword v6, off, s[96:99], 0 offset:240 ; 4-byte Folded Reload
	v_cndmask_b32_e64 v61, v1, v5, s[56:57]
	v_cndmask_b32_e64 v60, v0, v4, s[56:57]
	s_waitcnt vmcnt(0)
	v_cmp_ge_i32_e32 vcc, v42, v6
	s_or_b64 s[86:87], vcc, s[86:87]
	s_andn2_b64 exec, exec, s[86:87]
	s_cbranch_execz .LBB13_59
.LBB13_5:                               ;   Parent Loop BB13_2 Depth=1
                                        ; =>  This Inner Loop Header: Depth=2
	buffer_load_dword v4, off, s[96:99], 0 offset:232 ; 4-byte Folded Reload
	v_ashrrev_i32_e32 v59, 31, v58
	v_lshlrev_b64 v[0:1], 3, v[58:59]
	s_waitcnt vmcnt(0)
	v_add_co_u32_e32 v59, vcc, v4, v0
	buffer_load_dword v0, off, s[96:99], 0 offset:236 ; 4-byte Folded Reload
	s_waitcnt vmcnt(0)
	v_addc_co_u32_e32 v43, vcc, v0, v1, vcc
	global_load_dwordx2 v[0:1], v[2:3], off
	s_waitcnt vmcnt(0)
	buffer_store_dword v0, off, s[96:99], 0 offset:80 ; 4-byte Folded Spill
	s_nop 0
	buffer_store_dword v1, off, s[96:99], 0 offset:84 ; 4-byte Folded Spill
	v_mov_b32_e32 v0, 0
	v_mov_b32_e32 v1, 0
	buffer_store_dword v0, off, s[96:99], 0 ; 4-byte Folded Spill
	s_nop 0
	buffer_store_dword v1, off, s[96:99], 0 offset:4 ; 4-byte Folded Spill
	s_and_saveexec_b64 s[84:85], s[62:63]
	s_cbranch_execz .LBB13_7
; %bb.6:                                ;   in Loop: Header=BB13_5 Depth=2
	buffer_load_dword v0, off, s[96:99], 0 offset:244 ; 4-byte Folded Reload
	buffer_load_dword v1, off, s[96:99], 0 offset:248 ; 4-byte Folded Reload
	s_waitcnt vmcnt(1)
	v_add_co_u32_e32 v0, vcc, v59, v0
	s_waitcnt vmcnt(0)
	v_addc_co_u32_e32 v1, vcc, v43, v1, vcc
	global_load_dwordx2 v[0:1], v[0:1], off
	s_waitcnt vmcnt(0)
	buffer_store_dword v0, off, s[96:99], 0 ; 4-byte Folded Spill
	s_nop 0
	buffer_store_dword v1, off, s[96:99], 0 offset:4 ; 4-byte Folded Spill
.LBB13_7:                               ;   in Loop: Header=BB13_5 Depth=2
	s_or_b64 exec, exec, s[84:85]
	global_load_dwordx2 v[0:1], v[2:3], off offset:8
	v_mov_b32_e32 v50, 0
	v_mov_b32_e32 v28, 0
	;; [unrolled: 1-line block ×4, first 2 shown]
	s_waitcnt vmcnt(0)
	buffer_store_dword v0, off, s[96:99], 0 offset:88 ; 4-byte Folded Spill
	s_nop 0
	buffer_store_dword v1, off, s[96:99], 0 offset:92 ; 4-byte Folded Spill
	s_mov_b64 s[84:85], exec
	v_readlane_b32 vcc_lo, v62, 52
	v_readlane_b32 vcc_hi, v62, 53
	s_and_b64 vcc, s[84:85], vcc
	s_mov_b64 exec, vcc
	s_cbranch_execz .LBB13_9
; %bb.8:                                ;   in Loop: Header=BB13_5 Depth=2
	buffer_load_dword v0, off, s[96:99], 0 offset:252 ; 4-byte Folded Reload
	buffer_load_dword v1, off, s[96:99], 0 offset:256 ; 4-byte Folded Reload
	s_waitcnt vmcnt(1)
	v_add_co_u32_e32 v0, vcc, v59, v0
	s_waitcnt vmcnt(0)
	v_addc_co_u32_e32 v1, vcc, v43, v1, vcc
	global_load_dwordx2 v[28:29], v[0:1], off
.LBB13_9:                               ;   in Loop: Header=BB13_5 Depth=2
	s_or_b64 exec, exec, s[84:85]
	global_load_dwordx2 v[0:1], v[2:3], off offset:16
	s_waitcnt vmcnt(0)
	buffer_store_dword v0, off, s[96:99], 0 offset:96 ; 4-byte Folded Spill
	s_nop 0
	buffer_store_dword v1, off, s[96:99], 0 offset:100 ; 4-byte Folded Spill
	s_mov_b64 s[84:85], exec
	v_readlane_b32 vcc_lo, v62, 54
	v_readlane_b32 vcc_hi, v62, 55
	s_and_b64 vcc, s[84:85], vcc
	s_mov_b64 exec, vcc
	s_cbranch_execz .LBB13_11
; %bb.10:                               ;   in Loop: Header=BB13_5 Depth=2
	buffer_load_dword v0, off, s[96:99], 0 offset:260 ; 4-byte Folded Reload
	buffer_load_dword v1, off, s[96:99], 0 offset:264 ; 4-byte Folded Reload
	s_waitcnt vmcnt(1)
	v_add_co_u32_e32 v0, vcc, v59, v0
	s_waitcnt vmcnt(0)
	v_addc_co_u32_e32 v1, vcc, v43, v1, vcc
	global_load_dwordx2 v[50:51], v[0:1], off
.LBB13_11:                              ;   in Loop: Header=BB13_5 Depth=2
	s_or_b64 exec, exec, s[84:85]
	global_load_dwordx2 v[0:1], v[2:3], off offset:24
	v_mov_b32_e32 v8, 0
	v_mov_b32_e32 v9, 0
	s_waitcnt vmcnt(0)
	buffer_store_dword v0, off, s[96:99], 0 offset:104 ; 4-byte Folded Spill
	s_nop 0
	buffer_store_dword v1, off, s[96:99], 0 offset:108 ; 4-byte Folded Spill
	v_mov_b32_e32 v0, 0
	v_mov_b32_e32 v1, 0
	buffer_store_dword v0, off, s[96:99], 0 offset:8 ; 4-byte Folded Spill
	s_nop 0
	buffer_store_dword v1, off, s[96:99], 0 offset:12 ; 4-byte Folded Spill
	s_mov_b64 s[84:85], exec
	v_readlane_b32 vcc_lo, v62, 56
	v_readlane_b32 vcc_hi, v62, 57
	s_and_b64 vcc, s[84:85], vcc
	s_mov_b64 exec, vcc
	s_cbranch_execz .LBB13_13
; %bb.12:                               ;   in Loop: Header=BB13_5 Depth=2
	buffer_load_dword v0, off, s[96:99], 0 offset:268 ; 4-byte Folded Reload
	buffer_load_dword v1, off, s[96:99], 0 offset:272 ; 4-byte Folded Reload
	s_waitcnt vmcnt(1)
	v_add_co_u32_e32 v0, vcc, v59, v0
	s_waitcnt vmcnt(0)
	v_addc_co_u32_e32 v1, vcc, v43, v1, vcc
	global_load_dwordx2 v[0:1], v[0:1], off
	s_waitcnt vmcnt(0)
	buffer_store_dword v0, off, s[96:99], 0 offset:8 ; 4-byte Folded Spill
	s_nop 0
	buffer_store_dword v1, off, s[96:99], 0 offset:12 ; 4-byte Folded Spill
.LBB13_13:                              ;   in Loop: Header=BB13_5 Depth=2
	s_or_b64 exec, exec, s[84:85]
	global_load_dwordx2 v[0:1], v[2:3], off offset:32
	s_waitcnt vmcnt(0)
	buffer_store_dword v0, off, s[96:99], 0 offset:112 ; 4-byte Folded Spill
	s_nop 0
	buffer_store_dword v1, off, s[96:99], 0 offset:116 ; 4-byte Folded Spill
	s_mov_b64 s[84:85], exec
	v_readlane_b32 vcc_lo, v62, 58
	v_readlane_b32 vcc_hi, v62, 59
	s_and_b64 vcc, s[84:85], vcc
	s_mov_b64 exec, vcc
	s_cbranch_execz .LBB13_15
; %bb.14:                               ;   in Loop: Header=BB13_5 Depth=2
	buffer_load_dword v0, off, s[96:99], 0 offset:276 ; 4-byte Folded Reload
	buffer_load_dword v1, off, s[96:99], 0 offset:280 ; 4-byte Folded Reload
	s_waitcnt vmcnt(1)
	v_add_co_u32_e32 v0, vcc, v59, v0
	s_waitcnt vmcnt(0)
	v_addc_co_u32_e32 v1, vcc, v43, v1, vcc
	global_load_dwordx2 v[8:9], v[0:1], off
.LBB13_15:                              ;   in Loop: Header=BB13_5 Depth=2
	s_or_b64 exec, exec, s[84:85]
	global_load_dwordx2 v[0:1], v[2:3], off offset:40
	s_waitcnt vmcnt(0)
	buffer_store_dword v0, off, s[96:99], 0 offset:120 ; 4-byte Folded Spill
	s_nop 0
	buffer_store_dword v1, off, s[96:99], 0 offset:124 ; 4-byte Folded Spill
	v_mov_b32_e32 v0, 0
	v_mov_b32_e32 v1, 0
	buffer_store_dword v0, off, s[96:99], 0 offset:16 ; 4-byte Folded Spill
	s_nop 0
	buffer_store_dword v1, off, s[96:99], 0 offset:20 ; 4-byte Folded Spill
	v_mov_b32_e32 v0, 0
	v_mov_b32_e32 v1, 0
	buffer_store_dword v0, off, s[96:99], 0 offset:24 ; 4-byte Folded Spill
	s_nop 0
	buffer_store_dword v1, off, s[96:99], 0 offset:28 ; 4-byte Folded Spill
	s_mov_b64 s[84:85], exec
	v_readlane_b32 vcc_lo, v62, 60
	v_readlane_b32 vcc_hi, v62, 61
	s_and_b64 vcc, s[84:85], vcc
	s_mov_b64 exec, vcc
	s_cbranch_execz .LBB13_17
; %bb.16:                               ;   in Loop: Header=BB13_5 Depth=2
	buffer_load_dword v0, off, s[96:99], 0 offset:284 ; 4-byte Folded Reload
	buffer_load_dword v1, off, s[96:99], 0 offset:288 ; 4-byte Folded Reload
	s_waitcnt vmcnt(1)
	v_add_co_u32_e32 v0, vcc, v59, v0
	s_waitcnt vmcnt(0)
	v_addc_co_u32_e32 v1, vcc, v43, v1, vcc
	global_load_dwordx2 v[0:1], v[0:1], off
	s_waitcnt vmcnt(0)
	buffer_store_dword v0, off, s[96:99], 0 offset:24 ; 4-byte Folded Spill
	s_nop 0
	buffer_store_dword v1, off, s[96:99], 0 offset:28 ; 4-byte Folded Spill
.LBB13_17:                              ;   in Loop: Header=BB13_5 Depth=2
	s_or_b64 exec, exec, s[84:85]
	global_load_dwordx2 v[0:1], v[2:3], off offset:48
	s_waitcnt vmcnt(0)
	buffer_store_dword v0, off, s[96:99], 0 offset:128 ; 4-byte Folded Spill
	s_nop 0
	buffer_store_dword v1, off, s[96:99], 0 offset:132 ; 4-byte Folded Spill
	s_mov_b64 s[84:85], exec
	v_readlane_b32 vcc_lo, v62, 62
	v_readlane_b32 vcc_hi, v62, 63
	s_and_b64 vcc, s[84:85], vcc
	s_mov_b64 exec, vcc
	s_cbranch_execz .LBB13_19
; %bb.18:                               ;   in Loop: Header=BB13_5 Depth=2
	buffer_load_dword v0, off, s[96:99], 0 offset:292 ; 4-byte Folded Reload
	buffer_load_dword v1, off, s[96:99], 0 offset:296 ; 4-byte Folded Reload
	s_waitcnt vmcnt(1)
	v_add_co_u32_e32 v0, vcc, v59, v0
	s_waitcnt vmcnt(0)
	v_addc_co_u32_e32 v1, vcc, v43, v1, vcc
	global_load_dwordx2 v[0:1], v[0:1], off
	s_waitcnt vmcnt(0)
	buffer_store_dword v0, off, s[96:99], 0 offset:16 ; 4-byte Folded Spill
	s_nop 0
	buffer_store_dword v1, off, s[96:99], 0 offset:20 ; 4-byte Folded Spill
.LBB13_19:                              ;   in Loop: Header=BB13_5 Depth=2
	s_or_b64 exec, exec, s[84:85]
	global_load_dwordx2 v[0:1], v[2:3], off offset:56
	s_waitcnt vmcnt(0)
	buffer_store_dword v0, off, s[96:99], 0 offset:136 ; 4-byte Folded Spill
	s_nop 0
	buffer_store_dword v1, off, s[96:99], 0 offset:140 ; 4-byte Folded Spill
	v_mov_b32_e32 v0, 0
	v_mov_b32_e32 v1, 0
	buffer_store_dword v0, off, s[96:99], 0 offset:32 ; 4-byte Folded Spill
	s_nop 0
	buffer_store_dword v1, off, s[96:99], 0 offset:36 ; 4-byte Folded Spill
	v_mov_b32_e32 v0, 0
	v_mov_b32_e32 v1, 0
	buffer_store_dword v0, off, s[96:99], 0 offset:40 ; 4-byte Folded Spill
	s_nop 0
	buffer_store_dword v1, off, s[96:99], 0 offset:44 ; 4-byte Folded Spill
	s_mov_b64 s[84:85], exec
	v_readlane_b32 vcc_lo, v63, 0
	v_readlane_b32 vcc_hi, v63, 1
	s_and_b64 vcc, s[84:85], vcc
	s_mov_b64 exec, vcc
	s_cbranch_execz .LBB13_21
; %bb.20:                               ;   in Loop: Header=BB13_5 Depth=2
	buffer_load_dword v0, off, s[96:99], 0 offset:300 ; 4-byte Folded Reload
	buffer_load_dword v1, off, s[96:99], 0 offset:304 ; 4-byte Folded Reload
	s_waitcnt vmcnt(1)
	v_add_co_u32_e32 v0, vcc, v59, v0
	s_waitcnt vmcnt(0)
	v_addc_co_u32_e32 v1, vcc, v43, v1, vcc
	global_load_dwordx2 v[0:1], v[0:1], off
	s_waitcnt vmcnt(0)
	buffer_store_dword v0, off, s[96:99], 0 offset:40 ; 4-byte Folded Spill
	s_nop 0
	buffer_store_dword v1, off, s[96:99], 0 offset:44 ; 4-byte Folded Spill
.LBB13_21:                              ;   in Loop: Header=BB13_5 Depth=2
	s_or_b64 exec, exec, s[84:85]
	global_load_dwordx2 v[0:1], v[2:3], off offset:64
	s_waitcnt vmcnt(0)
	buffer_store_dword v0, off, s[96:99], 0 offset:144 ; 4-byte Folded Spill
	s_nop 0
	buffer_store_dword v1, off, s[96:99], 0 offset:148 ; 4-byte Folded Spill
	s_mov_b64 s[84:85], exec
	v_readlane_b32 vcc_lo, v63, 2
	v_readlane_b32 vcc_hi, v63, 3
	s_and_b64 vcc, s[84:85], vcc
	s_mov_b64 exec, vcc
	s_cbranch_execz .LBB13_23
; %bb.22:                               ;   in Loop: Header=BB13_5 Depth=2
	buffer_load_dword v0, off, s[96:99], 0 offset:308 ; 4-byte Folded Reload
	buffer_load_dword v1, off, s[96:99], 0 offset:312 ; 4-byte Folded Reload
	s_waitcnt vmcnt(1)
	v_add_co_u32_e32 v0, vcc, v59, v0
	s_waitcnt vmcnt(0)
	v_addc_co_u32_e32 v1, vcc, v43, v1, vcc
	global_load_dwordx2 v[0:1], v[0:1], off
	s_waitcnt vmcnt(0)
	buffer_store_dword v0, off, s[96:99], 0 offset:32 ; 4-byte Folded Spill
	s_nop 0
	buffer_store_dword v1, off, s[96:99], 0 offset:36 ; 4-byte Folded Spill
.LBB13_23:                              ;   in Loop: Header=BB13_5 Depth=2
	s_or_b64 exec, exec, s[84:85]
	global_load_dwordx2 v[0:1], v[2:3], off offset:72
	s_waitcnt vmcnt(0)
	buffer_store_dword v0, off, s[96:99], 0 offset:152 ; 4-byte Folded Spill
	s_nop 0
	buffer_store_dword v1, off, s[96:99], 0 offset:156 ; 4-byte Folded Spill
	v_mov_b32_e32 v0, 0
	v_mov_b32_e32 v1, 0
	buffer_store_dword v0, off, s[96:99], 0 offset:48 ; 4-byte Folded Spill
	s_nop 0
	buffer_store_dword v1, off, s[96:99], 0 offset:52 ; 4-byte Folded Spill
	v_mov_b32_e32 v0, 0
	v_mov_b32_e32 v1, 0
	buffer_store_dword v0, off, s[96:99], 0 offset:56 ; 4-byte Folded Spill
	s_nop 0
	buffer_store_dword v1, off, s[96:99], 0 offset:60 ; 4-byte Folded Spill
	s_mov_b64 s[84:85], exec
	v_readlane_b32 vcc_lo, v63, 4
	v_readlane_b32 vcc_hi, v63, 5
	s_and_b64 vcc, s[84:85], vcc
	s_mov_b64 exec, vcc
	s_cbranch_execz .LBB13_25
; %bb.24:                               ;   in Loop: Header=BB13_5 Depth=2
	buffer_load_dword v0, off, s[96:99], 0 offset:316 ; 4-byte Folded Reload
	buffer_load_dword v1, off, s[96:99], 0 offset:320 ; 4-byte Folded Reload
	s_waitcnt vmcnt(1)
	v_add_co_u32_e32 v0, vcc, v59, v0
	s_waitcnt vmcnt(0)
	v_addc_co_u32_e32 v1, vcc, v43, v1, vcc
	global_load_dwordx2 v[0:1], v[0:1], off
	s_waitcnt vmcnt(0)
	buffer_store_dword v0, off, s[96:99], 0 offset:56 ; 4-byte Folded Spill
	s_nop 0
	buffer_store_dword v1, off, s[96:99], 0 offset:60 ; 4-byte Folded Spill
.LBB13_25:                              ;   in Loop: Header=BB13_5 Depth=2
	s_or_b64 exec, exec, s[84:85]
	global_load_dwordx2 v[0:1], v[2:3], off offset:80
	s_waitcnt vmcnt(0)
	buffer_store_dword v0, off, s[96:99], 0 offset:160 ; 4-byte Folded Spill
	s_nop 0
	buffer_store_dword v1, off, s[96:99], 0 offset:164 ; 4-byte Folded Spill
	s_and_saveexec_b64 s[84:85], s[58:59]
	s_cbranch_execz .LBB13_27
; %bb.26:                               ;   in Loop: Header=BB13_5 Depth=2
	buffer_load_dword v0, off, s[96:99], 0 offset:324 ; 4-byte Folded Reload
	buffer_load_dword v1, off, s[96:99], 0 offset:328 ; 4-byte Folded Reload
	s_waitcnt vmcnt(1)
	v_add_co_u32_e32 v0, vcc, v59, v0
	s_waitcnt vmcnt(0)
	v_addc_co_u32_e32 v1, vcc, v43, v1, vcc
	global_load_dwordx2 v[0:1], v[0:1], off
	s_waitcnt vmcnt(0)
	buffer_store_dword v0, off, s[96:99], 0 offset:48 ; 4-byte Folded Spill
	s_nop 0
	buffer_store_dword v1, off, s[96:99], 0 offset:52 ; 4-byte Folded Spill
.LBB13_27:                              ;   in Loop: Header=BB13_5 Depth=2
	s_or_b64 exec, exec, s[84:85]
	global_load_dwordx2 v[0:1], v[2:3], off offset:88
	s_waitcnt vmcnt(0)
	buffer_store_dword v0, off, s[96:99], 0 offset:168 ; 4-byte Folded Spill
	s_nop 0
	buffer_store_dword v1, off, s[96:99], 0 offset:172 ; 4-byte Folded Spill
	v_mov_b32_e32 v0, 0
	v_mov_b32_e32 v1, 0
	buffer_store_dword v0, off, s[96:99], 0 offset:64 ; 4-byte Folded Spill
	s_nop 0
	buffer_store_dword v1, off, s[96:99], 0 offset:68 ; 4-byte Folded Spill
	v_mov_b32_e32 v0, 0
	v_mov_b32_e32 v1, 0
	buffer_store_dword v0, off, s[96:99], 0 offset:72 ; 4-byte Folded Spill
	s_nop 0
	buffer_store_dword v1, off, s[96:99], 0 offset:76 ; 4-byte Folded Spill
	s_mov_b64 s[84:85], exec
	v_readlane_b32 vcc_lo, v63, 6
	v_readlane_b32 vcc_hi, v63, 7
	s_and_b64 vcc, s[84:85], vcc
	s_mov_b64 exec, vcc
	s_cbranch_execz .LBB13_29
; %bb.28:                               ;   in Loop: Header=BB13_5 Depth=2
	buffer_load_dword v0, off, s[96:99], 0 offset:332 ; 4-byte Folded Reload
	buffer_load_dword v1, off, s[96:99], 0 offset:336 ; 4-byte Folded Reload
	s_waitcnt vmcnt(1)
	v_add_co_u32_e32 v0, vcc, v59, v0
	s_waitcnt vmcnt(0)
	v_addc_co_u32_e32 v1, vcc, v43, v1, vcc
	global_load_dwordx2 v[0:1], v[0:1], off
	s_waitcnt vmcnt(0)
	buffer_store_dword v0, off, s[96:99], 0 offset:72 ; 4-byte Folded Spill
	s_nop 0
	buffer_store_dword v1, off, s[96:99], 0 offset:76 ; 4-byte Folded Spill
.LBB13_29:                              ;   in Loop: Header=BB13_5 Depth=2
	s_or_b64 exec, exec, s[84:85]
	global_load_dwordx2 v[0:1], v[2:3], off offset:96
	s_waitcnt vmcnt(0)
	buffer_store_dword v0, off, s[96:99], 0 offset:176 ; 4-byte Folded Spill
	s_nop 0
	buffer_store_dword v1, off, s[96:99], 0 offset:180 ; 4-byte Folded Spill
	s_and_saveexec_b64 s[84:85], s[72:73]
	s_cbranch_execz .LBB13_31
; %bb.30:                               ;   in Loop: Header=BB13_5 Depth=2
	buffer_load_dword v0, off, s[96:99], 0 offset:340 ; 4-byte Folded Reload
	buffer_load_dword v1, off, s[96:99], 0 offset:344 ; 4-byte Folded Reload
	s_waitcnt vmcnt(1)
	v_add_co_u32_e32 v0, vcc, v59, v0
	s_waitcnt vmcnt(0)
	v_addc_co_u32_e32 v1, vcc, v43, v1, vcc
	global_load_dwordx2 v[0:1], v[0:1], off
	s_waitcnt vmcnt(0)
	buffer_store_dword v0, off, s[96:99], 0 offset:64 ; 4-byte Folded Spill
	s_nop 0
	buffer_store_dword v1, off, s[96:99], 0 offset:68 ; 4-byte Folded Spill
.LBB13_31:                              ;   in Loop: Header=BB13_5 Depth=2
	s_or_b64 exec, exec, s[84:85]
	global_load_dwordx2 v[0:1], v[2:3], off offset:104
	v_mov_b32_e32 v56, 0
	v_mov_b32_e32 v57, 0
	s_waitcnt vmcnt(0)
	buffer_store_dword v0, off, s[96:99], 0 offset:184 ; 4-byte Folded Spill
	s_nop 0
	buffer_store_dword v1, off, s[96:99], 0 offset:188 ; 4-byte Folded Spill
	v_mov_b32_e32 v0, 0
	v_mov_b32_e32 v1, 0
	s_and_saveexec_b64 s[84:85], s[74:75]
	s_cbranch_execz .LBB13_33
; %bb.32:                               ;   in Loop: Header=BB13_5 Depth=2
	buffer_load_dword v0, off, s[96:99], 0 offset:348 ; 4-byte Folded Reload
	buffer_load_dword v1, off, s[96:99], 0 offset:352 ; 4-byte Folded Reload
	s_waitcnt vmcnt(1)
	v_add_co_u32_e32 v0, vcc, v59, v0
	s_waitcnt vmcnt(0)
	v_addc_co_u32_e32 v1, vcc, v43, v1, vcc
	global_load_dwordx2 v[0:1], v[0:1], off
.LBB13_33:                              ;   in Loop: Header=BB13_5 Depth=2
	s_or_b64 exec, exec, s[84:85]
	global_load_dwordx2 v[4:5], v[2:3], off offset:112
	s_waitcnt vmcnt(0)
	buffer_store_dword v4, off, s[96:99], 0 offset:192 ; 4-byte Folded Spill
	s_nop 0
	buffer_store_dword v5, off, s[96:99], 0 offset:196 ; 4-byte Folded Spill
	s_and_saveexec_b64 s[84:85], s[68:69]
	s_cbranch_execz .LBB13_35
; %bb.34:                               ;   in Loop: Header=BB13_5 Depth=2
	buffer_load_dword v4, off, s[96:99], 0 offset:356 ; 4-byte Folded Reload
	buffer_load_dword v5, off, s[96:99], 0 offset:360 ; 4-byte Folded Reload
	s_waitcnt vmcnt(1)
	v_add_co_u32_e32 v4, vcc, v59, v4
	s_waitcnt vmcnt(0)
	v_addc_co_u32_e32 v5, vcc, v43, v5, vcc
	global_load_dwordx2 v[56:57], v[4:5], off
.LBB13_35:                              ;   in Loop: Header=BB13_5 Depth=2
	s_or_b64 exec, exec, s[84:85]
	global_load_dwordx2 v[4:5], v[2:3], off offset:120
	v_mov_b32_e32 v14, 0
	v_mov_b32_e32 v20, 0
	;; [unrolled: 1-line block ×4, first 2 shown]
	s_waitcnt vmcnt(0)
	buffer_store_dword v4, off, s[96:99], 0 offset:200 ; 4-byte Folded Spill
	s_nop 0
	buffer_store_dword v5, off, s[96:99], 0 offset:204 ; 4-byte Folded Spill
	s_and_saveexec_b64 s[84:85], s[70:71]
	s_cbranch_execz .LBB13_37
; %bb.36:                               ;   in Loop: Header=BB13_5 Depth=2
	buffer_load_dword v4, off, s[96:99], 0 offset:364 ; 4-byte Folded Reload
	buffer_load_dword v5, off, s[96:99], 0 offset:368 ; 4-byte Folded Reload
	s_waitcnt vmcnt(1)
	v_add_co_u32_e32 v4, vcc, v59, v4
	s_waitcnt vmcnt(0)
	v_addc_co_u32_e32 v5, vcc, v43, v5, vcc
	global_load_dwordx2 v[20:21], v[4:5], off
.LBB13_37:                              ;   in Loop: Header=BB13_5 Depth=2
	s_or_b64 exec, exec, s[84:85]
	global_load_dwordx2 v[4:5], v[2:3], off offset:128
	s_waitcnt vmcnt(0)
	buffer_store_dword v4, off, s[96:99], 0 offset:208 ; 4-byte Folded Spill
	s_nop 0
	buffer_store_dword v5, off, s[96:99], 0 offset:212 ; 4-byte Folded Spill
	s_and_saveexec_b64 s[84:85], s[88:89]
	s_cbranch_execz .LBB13_39
; %bb.38:                               ;   in Loop: Header=BB13_5 Depth=2
	buffer_load_dword v4, off, s[96:99], 0 offset:372 ; 4-byte Folded Reload
	buffer_load_dword v5, off, s[96:99], 0 offset:376 ; 4-byte Folded Reload
	s_waitcnt vmcnt(1)
	v_add_co_u32_e32 v4, vcc, v59, v4
	s_waitcnt vmcnt(0)
	v_addc_co_u32_e32 v5, vcc, v43, v5, vcc
	global_load_dwordx2 v[14:15], v[4:5], off
.LBB13_39:                              ;   in Loop: Header=BB13_5 Depth=2
	s_or_b64 exec, exec, s[84:85]
	global_load_dwordx2 v[4:5], v[2:3], off offset:136
	v_mov_b32_e32 v30, 0
	v_mov_b32_e32 v31, 0
	s_waitcnt vmcnt(0)
	buffer_store_dword v4, off, s[96:99], 0 offset:216 ; 4-byte Folded Spill
	s_nop 0
	buffer_store_dword v5, off, s[96:99], 0 offset:220 ; 4-byte Folded Spill
	v_mov_b32_e32 v4, 0
	v_mov_b32_e32 v5, 0
	s_and_saveexec_b64 s[84:85], s[64:65]
	s_cbranch_execz .LBB13_41
; %bb.40:                               ;   in Loop: Header=BB13_5 Depth=2
	buffer_load_dword v4, off, s[96:99], 0 offset:380 ; 4-byte Folded Reload
	buffer_load_dword v5, off, s[96:99], 0 offset:384 ; 4-byte Folded Reload
	s_waitcnt vmcnt(1)
	v_add_co_u32_e32 v4, vcc, v59, v4
	s_waitcnt vmcnt(0)
	v_addc_co_u32_e32 v5, vcc, v43, v5, vcc
	global_load_dwordx2 v[4:5], v[4:5], off
.LBB13_41:                              ;   in Loop: Header=BB13_5 Depth=2
	s_or_b64 exec, exec, s[84:85]
	global_load_dwordx2 v[6:7], v[2:3], off offset:144
	s_waitcnt vmcnt(0)
	buffer_store_dword v6, off, s[96:99], 0 offset:224 ; 4-byte Folded Spill
	s_nop 0
	buffer_store_dword v7, off, s[96:99], 0 offset:228 ; 4-byte Folded Spill
	s_and_saveexec_b64 s[84:85], s[66:67]
	s_cbranch_execz .LBB13_43
; %bb.42:                               ;   in Loop: Header=BB13_5 Depth=2
	buffer_load_dword v6, off, s[96:99], 0 offset:388 ; 4-byte Folded Reload
	buffer_load_dword v7, off, s[96:99], 0 offset:392 ; 4-byte Folded Reload
	s_waitcnt vmcnt(1)
	v_add_co_u32_e32 v6, vcc, v59, v6
	s_waitcnt vmcnt(0)
	v_addc_co_u32_e32 v7, vcc, v43, v7, vcc
	global_load_dwordx2 v[30:31], v[6:7], off
.LBB13_43:                              ;   in Loop: Header=BB13_5 Depth=2
	s_or_b64 exec, exec, s[84:85]
	global_load_dwordx2 v[36:37], v[2:3], off offset:152
	v_mov_b32_e32 v10, 0
	v_mov_b32_e32 v38, 0
	v_mov_b32_e32 v11, 0
	v_mov_b32_e32 v39, 0
	s_and_saveexec_b64 s[84:85], s[82:83]
	s_cbranch_execz .LBB13_45
; %bb.44:                               ;   in Loop: Header=BB13_5 Depth=2
	buffer_load_dword v6, off, s[96:99], 0 offset:396 ; 4-byte Folded Reload
	buffer_load_dword v7, off, s[96:99], 0 offset:400 ; 4-byte Folded Reload
	s_waitcnt vmcnt(1)
	v_add_co_u32_e32 v6, vcc, v59, v6
	s_waitcnt vmcnt(0)
	v_addc_co_u32_e32 v7, vcc, v43, v7, vcc
	global_load_dwordx2 v[38:39], v[6:7], off
.LBB13_45:                              ;   in Loop: Header=BB13_5 Depth=2
	s_or_b64 exec, exec, s[84:85]
	global_load_dwordx2 v[16:17], v[2:3], off offset:160
	s_and_saveexec_b64 s[84:85], s[90:91]
	s_cbranch_execz .LBB13_47
; %bb.46:                               ;   in Loop: Header=BB13_5 Depth=2
	buffer_load_dword v6, off, s[96:99], 0 offset:404 ; 4-byte Folded Reload
	buffer_load_dword v7, off, s[96:99], 0 offset:408 ; 4-byte Folded Reload
	s_waitcnt vmcnt(1)
	v_add_co_u32_e32 v6, vcc, v59, v6
	s_waitcnt vmcnt(0)
	v_addc_co_u32_e32 v7, vcc, v43, v7, vcc
	global_load_dwordx2 v[10:11], v[6:7], off
.LBB13_47:                              ;   in Loop: Header=BB13_5 Depth=2
	s_or_b64 exec, exec, s[84:85]
	global_load_dwordx2 v[18:19], v[2:3], off offset:168
	v_mov_b32_e32 v44, 0
	v_mov_b32_e32 v46, 0
	v_mov_b32_e32 v45, 0
	v_mov_b32_e32 v47, 0
	s_and_saveexec_b64 s[84:85], s[92:93]
	s_cbranch_execz .LBB13_49
; %bb.48:                               ;   in Loop: Header=BB13_5 Depth=2
	buffer_load_dword v6, off, s[96:99], 0 offset:412 ; 4-byte Folded Reload
	buffer_load_dword v7, off, s[96:99], 0 offset:416 ; 4-byte Folded Reload
	s_waitcnt vmcnt(1)
	v_add_co_u32_e32 v6, vcc, v59, v6
	s_waitcnt vmcnt(0)
	v_addc_co_u32_e32 v7, vcc, v43, v7, vcc
	global_load_dwordx2 v[46:47], v[6:7], off
.LBB13_49:                              ;   in Loop: Header=BB13_5 Depth=2
	s_or_b64 exec, exec, s[84:85]
	global_load_dwordx2 v[24:25], v[2:3], off offset:176
	;; [unrolled: 30-line block ×4, first 2 shown]
	s_and_saveexec_b64 s[84:85], s[80:81]
	s_cbranch_execz .LBB13_4
; %bb.58:                               ;   in Loop: Header=BB13_5 Depth=2
	buffer_load_dword v6, off, s[96:99], 0 offset:452 ; 4-byte Folded Reload
	buffer_load_dword v7, off, s[96:99], 0 offset:456 ; 4-byte Folded Reload
	s_waitcnt vmcnt(1)
	v_add_co_u32_e32 v6, vcc, v59, v6
	s_waitcnt vmcnt(0)
	v_addc_co_u32_e32 v7, vcc, v43, v7, vcc
	global_load_dwordx2 v[6:7], v[6:7], off
	s_branch .LBB13_4
.LBB13_59:                              ;   in Loop: Header=BB13_2 Depth=1
	s_or_b64 exec, exec, s[86:87]
	buffer_load_dword v9, off, s[96:99], 0 offset:468 ; 4-byte Folded Reload
	buffer_load_dword v8, off, s[96:99], 0 offset:472 ; 4-byte Folded Reload
	;; [unrolled: 1-line block ×5, first 2 shown]
	v_readlane_b32 s16, v62, 44
	v_readlane_b32 s17, v62, 45
	s_branch .LBB13_61
.LBB13_60:                              ;   in Loop: Header=BB13_2 Depth=1
	v_mov_b32_e32 v60, 0
	v_mov_b32_e32 v61, 0
.LBB13_61:                              ;   in Loop: Header=BB13_2 Depth=1
	v_readlane_b32 s8, v62, 48
	v_readlane_b32 s9, v62, 49
; %bb.62:                               ;   in Loop: Header=BB13_2 Depth=1
	s_waitcnt vmcnt(0)
	v_mul_lo_u32 v0, v30, s17
	v_readlane_b32 s4, v62, 22
	v_mul_lo_u32 v2, s4, v29
	v_readlane_b32 s0, v62, 18
	v_ashrrev_i32_e32 v1, 31, v0
	v_lshlrev_b64 v[0:1], 3, v[0:1]
	v_readlane_b32 s1, v62, 19
	v_mov_b32_e32 v3, s1
	v_add_co_u32_e32 v4, vcc, s0, v0
	v_readlane_b32 s5, v62, 23
	v_addc_co_u32_e32 v5, vcc, v3, v1, vcc
	v_ashrrev_i32_e32 v3, 31, v2
	v_lshlrev_b64 v[0:1], 3, v[2:3]
	v_mul_lo_u32 v2, s5, v6
	buffer_load_dword v6, off, s[96:99], 0 offset:460 ; 4-byte Folded Reload
	buffer_load_dword v7, off, s[96:99], 0 offset:464 ; 4-byte Folded Reload
	v_readlane_b32 s6, v62, 24
	v_add_co_u32_e32 v4, vcc, v4, v0
	v_ashrrev_i32_e32 v3, 31, v2
	v_addc_co_u32_e32 v5, vcc, v5, v1, vcc
	v_lshlrev_b64 v[0:1], 3, v[2:3]
	v_mul_lo_u32 v2, s6, v8
	v_readlane_b32 s7, v62, 25
	v_add_co_u32_e32 v4, vcc, v4, v0
	v_ashrrev_i32_e32 v3, 31, v2
	v_addc_co_u32_e32 v5, vcc, v5, v1, vcc
	v_lshlrev_b64 v[0:1], 3, v[2:3]
	v_mul_lo_u32 v2, s7, v9
	v_add_co_u32_e32 v4, vcc, v4, v0
	v_addc_co_u32_e32 v5, vcc, v5, v1, vcc
	v_readlane_b32 s0, v62, 26
	v_ashrrev_i32_e32 v3, 31, v2
	v_lshlrev_b64 v[0:1], 3, v[2:3]
	v_add_co_u32_e64 v0, s[2:3], v4, v0
	v_addc_co_u32_e64 v1, s[2:3], v5, v1, s[2:3]
	global_store_dwordx2 v[0:1], v[60:61], off
	s_waitcnt vmcnt(2)
	v_add_co_u32_e32 v6, vcc, s0, v6
	v_readlane_b32 s0, v62, 5
	s_waitcnt vmcnt(1)
	v_addc_co_u32_e32 v7, vcc, 0, v7, vcc
	v_readlane_b32 s1, v62, 6
	v_cmp_le_i64_e32 vcc, s[0:1], v[6:7]
	s_or_b64 s[8:9], vcc, s[8:9]
	s_andn2_b64 exec, exec, s[8:9]
	s_cbranch_execnz .LBB13_2
.LBB13_63:
	s_endpgm
	.section	.rodata,"a",@progbits
	.p2align	6, 0x0
	.amdhsa_kernel _ZN2at6native12_GLOBAL__N_143conv_depthwise3d_cuda_backward_input_kernelIddLi3ELi3ELi3ELi1ELi1ELi1ELin1ELin1ELin1EEEvN5torch10headeronly6detail27GenericPackedTensorAccessorINS5_14TensorAccessorIN3c108ArrayRefIlEEKT_Lm4ENS4_16DefaultPtrTraitsEiEENS_6detail16IndexBoundsCheckILm5EiEESC_Lm5ESD_iEENS6_INS7_ISA_SB_Lm4ESD_iEESH_SB_Lm5ESD_iEESI_iiiiiiiii
		.amdhsa_group_segment_fixed_size 0
		.amdhsa_private_segment_fixed_size 520
		.amdhsa_kernarg_size 440
		.amdhsa_user_sgpr_count 6
		.amdhsa_user_sgpr_private_segment_buffer 1
		.amdhsa_user_sgpr_dispatch_ptr 0
		.amdhsa_user_sgpr_queue_ptr 0
		.amdhsa_user_sgpr_kernarg_segment_ptr 1
		.amdhsa_user_sgpr_dispatch_id 0
		.amdhsa_user_sgpr_flat_scratch_init 0
		.amdhsa_user_sgpr_private_segment_size 0
		.amdhsa_uses_dynamic_stack 0
		.amdhsa_system_sgpr_private_segment_wavefront_offset 1
		.amdhsa_system_sgpr_workgroup_id_x 1
		.amdhsa_system_sgpr_workgroup_id_y 0
		.amdhsa_system_sgpr_workgroup_id_z 0
		.amdhsa_system_sgpr_workgroup_info 0
		.amdhsa_system_vgpr_workitem_id 0
		.amdhsa_next_free_vgpr 64
		.amdhsa_next_free_sgpr 100
		.amdhsa_reserve_vcc 1
		.amdhsa_reserve_flat_scratch 0
		.amdhsa_float_round_mode_32 0
		.amdhsa_float_round_mode_16_64 0
		.amdhsa_float_denorm_mode_32 3
		.amdhsa_float_denorm_mode_16_64 3
		.amdhsa_dx10_clamp 1
		.amdhsa_ieee_mode 1
		.amdhsa_fp16_overflow 0
		.amdhsa_exception_fp_ieee_invalid_op 0
		.amdhsa_exception_fp_denorm_src 0
		.amdhsa_exception_fp_ieee_div_zero 0
		.amdhsa_exception_fp_ieee_overflow 0
		.amdhsa_exception_fp_ieee_underflow 0
		.amdhsa_exception_fp_ieee_inexact 0
		.amdhsa_exception_int_div_zero 0
	.end_amdhsa_kernel
	.section	.text._ZN2at6native12_GLOBAL__N_143conv_depthwise3d_cuda_backward_input_kernelIddLi3ELi3ELi3ELi1ELi1ELi1ELin1ELin1ELin1EEEvN5torch10headeronly6detail27GenericPackedTensorAccessorINS5_14TensorAccessorIN3c108ArrayRefIlEEKT_Lm4ENS4_16DefaultPtrTraitsEiEENS_6detail16IndexBoundsCheckILm5EiEESC_Lm5ESD_iEENS6_INS7_ISA_SB_Lm4ESD_iEESH_SB_Lm5ESD_iEESI_iiiiiiiii,"axG",@progbits,_ZN2at6native12_GLOBAL__N_143conv_depthwise3d_cuda_backward_input_kernelIddLi3ELi3ELi3ELi1ELi1ELi1ELin1ELin1ELin1EEEvN5torch10headeronly6detail27GenericPackedTensorAccessorINS5_14TensorAccessorIN3c108ArrayRefIlEEKT_Lm4ENS4_16DefaultPtrTraitsEiEENS_6detail16IndexBoundsCheckILm5EiEESC_Lm5ESD_iEENS6_INS7_ISA_SB_Lm4ESD_iEESH_SB_Lm5ESD_iEESI_iiiiiiiii,comdat
.Lfunc_end13:
	.size	_ZN2at6native12_GLOBAL__N_143conv_depthwise3d_cuda_backward_input_kernelIddLi3ELi3ELi3ELi1ELi1ELi1ELin1ELin1ELin1EEEvN5torch10headeronly6detail27GenericPackedTensorAccessorINS5_14TensorAccessorIN3c108ArrayRefIlEEKT_Lm4ENS4_16DefaultPtrTraitsEiEENS_6detail16IndexBoundsCheckILm5EiEESC_Lm5ESD_iEENS6_INS7_ISA_SB_Lm4ESD_iEESH_SB_Lm5ESD_iEESI_iiiiiiiii, .Lfunc_end13-_ZN2at6native12_GLOBAL__N_143conv_depthwise3d_cuda_backward_input_kernelIddLi3ELi3ELi3ELi1ELi1ELi1ELin1ELin1ELin1EEEvN5torch10headeronly6detail27GenericPackedTensorAccessorINS5_14TensorAccessorIN3c108ArrayRefIlEEKT_Lm4ENS4_16DefaultPtrTraitsEiEENS_6detail16IndexBoundsCheckILm5EiEESC_Lm5ESD_iEENS6_INS7_ISA_SB_Lm4ESD_iEESH_SB_Lm5ESD_iEESI_iiiiiiiii
                                        ; -- End function
	.set _ZN2at6native12_GLOBAL__N_143conv_depthwise3d_cuda_backward_input_kernelIddLi3ELi3ELi3ELi1ELi1ELi1ELin1ELin1ELin1EEEvN5torch10headeronly6detail27GenericPackedTensorAccessorINS5_14TensorAccessorIN3c108ArrayRefIlEEKT_Lm4ENS4_16DefaultPtrTraitsEiEENS_6detail16IndexBoundsCheckILm5EiEESC_Lm5ESD_iEENS6_INS7_ISA_SB_Lm4ESD_iEESH_SB_Lm5ESD_iEESI_iiiiiiiii.num_vgpr, 64
	.set _ZN2at6native12_GLOBAL__N_143conv_depthwise3d_cuda_backward_input_kernelIddLi3ELi3ELi3ELi1ELi1ELi1ELin1ELin1ELin1EEEvN5torch10headeronly6detail27GenericPackedTensorAccessorINS5_14TensorAccessorIN3c108ArrayRefIlEEKT_Lm4ENS4_16DefaultPtrTraitsEiEENS_6detail16IndexBoundsCheckILm5EiEESC_Lm5ESD_iEENS6_INS7_ISA_SB_Lm4ESD_iEESH_SB_Lm5ESD_iEESI_iiiiiiiii.num_agpr, 0
	.set _ZN2at6native12_GLOBAL__N_143conv_depthwise3d_cuda_backward_input_kernelIddLi3ELi3ELi3ELi1ELi1ELi1ELin1ELin1ELin1EEEvN5torch10headeronly6detail27GenericPackedTensorAccessorINS5_14TensorAccessorIN3c108ArrayRefIlEEKT_Lm4ENS4_16DefaultPtrTraitsEiEENS_6detail16IndexBoundsCheckILm5EiEESC_Lm5ESD_iEENS6_INS7_ISA_SB_Lm4ESD_iEESH_SB_Lm5ESD_iEESI_iiiiiiiii.numbered_sgpr, 100
	.set _ZN2at6native12_GLOBAL__N_143conv_depthwise3d_cuda_backward_input_kernelIddLi3ELi3ELi3ELi1ELi1ELi1ELin1ELin1ELin1EEEvN5torch10headeronly6detail27GenericPackedTensorAccessorINS5_14TensorAccessorIN3c108ArrayRefIlEEKT_Lm4ENS4_16DefaultPtrTraitsEiEENS_6detail16IndexBoundsCheckILm5EiEESC_Lm5ESD_iEENS6_INS7_ISA_SB_Lm4ESD_iEESH_SB_Lm5ESD_iEESI_iiiiiiiii.num_named_barrier, 0
	.set _ZN2at6native12_GLOBAL__N_143conv_depthwise3d_cuda_backward_input_kernelIddLi3ELi3ELi3ELi1ELi1ELi1ELin1ELin1ELin1EEEvN5torch10headeronly6detail27GenericPackedTensorAccessorINS5_14TensorAccessorIN3c108ArrayRefIlEEKT_Lm4ENS4_16DefaultPtrTraitsEiEENS_6detail16IndexBoundsCheckILm5EiEESC_Lm5ESD_iEENS6_INS7_ISA_SB_Lm4ESD_iEESH_SB_Lm5ESD_iEESI_iiiiiiiii.private_seg_size, 520
	.set _ZN2at6native12_GLOBAL__N_143conv_depthwise3d_cuda_backward_input_kernelIddLi3ELi3ELi3ELi1ELi1ELi1ELin1ELin1ELin1EEEvN5torch10headeronly6detail27GenericPackedTensorAccessorINS5_14TensorAccessorIN3c108ArrayRefIlEEKT_Lm4ENS4_16DefaultPtrTraitsEiEENS_6detail16IndexBoundsCheckILm5EiEESC_Lm5ESD_iEENS6_INS7_ISA_SB_Lm4ESD_iEESH_SB_Lm5ESD_iEESI_iiiiiiiii.uses_vcc, 1
	.set _ZN2at6native12_GLOBAL__N_143conv_depthwise3d_cuda_backward_input_kernelIddLi3ELi3ELi3ELi1ELi1ELi1ELin1ELin1ELin1EEEvN5torch10headeronly6detail27GenericPackedTensorAccessorINS5_14TensorAccessorIN3c108ArrayRefIlEEKT_Lm4ENS4_16DefaultPtrTraitsEiEENS_6detail16IndexBoundsCheckILm5EiEESC_Lm5ESD_iEENS6_INS7_ISA_SB_Lm4ESD_iEESH_SB_Lm5ESD_iEESI_iiiiiiiii.uses_flat_scratch, 0
	.set _ZN2at6native12_GLOBAL__N_143conv_depthwise3d_cuda_backward_input_kernelIddLi3ELi3ELi3ELi1ELi1ELi1ELin1ELin1ELin1EEEvN5torch10headeronly6detail27GenericPackedTensorAccessorINS5_14TensorAccessorIN3c108ArrayRefIlEEKT_Lm4ENS4_16DefaultPtrTraitsEiEENS_6detail16IndexBoundsCheckILm5EiEESC_Lm5ESD_iEENS6_INS7_ISA_SB_Lm4ESD_iEESH_SB_Lm5ESD_iEESI_iiiiiiiii.has_dyn_sized_stack, 0
	.set _ZN2at6native12_GLOBAL__N_143conv_depthwise3d_cuda_backward_input_kernelIddLi3ELi3ELi3ELi1ELi1ELi1ELin1ELin1ELin1EEEvN5torch10headeronly6detail27GenericPackedTensorAccessorINS5_14TensorAccessorIN3c108ArrayRefIlEEKT_Lm4ENS4_16DefaultPtrTraitsEiEENS_6detail16IndexBoundsCheckILm5EiEESC_Lm5ESD_iEENS6_INS7_ISA_SB_Lm4ESD_iEESH_SB_Lm5ESD_iEESI_iiiiiiiii.has_recursion, 0
	.set _ZN2at6native12_GLOBAL__N_143conv_depthwise3d_cuda_backward_input_kernelIddLi3ELi3ELi3ELi1ELi1ELi1ELin1ELin1ELin1EEEvN5torch10headeronly6detail27GenericPackedTensorAccessorINS5_14TensorAccessorIN3c108ArrayRefIlEEKT_Lm4ENS4_16DefaultPtrTraitsEiEENS_6detail16IndexBoundsCheckILm5EiEESC_Lm5ESD_iEENS6_INS7_ISA_SB_Lm4ESD_iEESH_SB_Lm5ESD_iEESI_iiiiiiiii.has_indirect_call, 0
	.section	.AMDGPU.csdata,"",@progbits
; Kernel info:
; codeLenInByte = 9732
; TotalNumSgprs: 104
; NumVgprs: 64
; ScratchSize: 520
; MemoryBound: 0
; FloatMode: 240
; IeeeMode: 1
; LDSByteSize: 0 bytes/workgroup (compile time only)
; SGPRBlocks: 12
; VGPRBlocks: 15
; NumSGPRsForWavesPerEU: 104
; NumVGPRsForWavesPerEU: 64
; Occupancy: 4
; WaveLimiterHint : 0
; COMPUTE_PGM_RSRC2:SCRATCH_EN: 1
; COMPUTE_PGM_RSRC2:USER_SGPR: 6
; COMPUTE_PGM_RSRC2:TRAP_HANDLER: 0
; COMPUTE_PGM_RSRC2:TGID_X_EN: 1
; COMPUTE_PGM_RSRC2:TGID_Y_EN: 0
; COMPUTE_PGM_RSRC2:TGID_Z_EN: 0
; COMPUTE_PGM_RSRC2:TIDIG_COMP_CNT: 0
	.section	.text._ZN2at6native12_GLOBAL__N_143conv_depthwise3d_cuda_backward_input_kernelIddLi3ELi3ELi3ELin1ELin1ELin1ELi1ELi1ELi1EEEvN5torch10headeronly6detail27GenericPackedTensorAccessorINS5_14TensorAccessorIN3c108ArrayRefIlEEKT_Lm4ENS4_16DefaultPtrTraitsEiEENS_6detail16IndexBoundsCheckILm5EiEESC_Lm5ESD_iEENS6_INS7_ISA_SB_Lm4ESD_iEESH_SB_Lm5ESD_iEESI_iiiiiiiii,"axG",@progbits,_ZN2at6native12_GLOBAL__N_143conv_depthwise3d_cuda_backward_input_kernelIddLi3ELi3ELi3ELin1ELin1ELin1ELi1ELi1ELi1EEEvN5torch10headeronly6detail27GenericPackedTensorAccessorINS5_14TensorAccessorIN3c108ArrayRefIlEEKT_Lm4ENS4_16DefaultPtrTraitsEiEENS_6detail16IndexBoundsCheckILm5EiEESC_Lm5ESD_iEENS6_INS7_ISA_SB_Lm4ESD_iEESH_SB_Lm5ESD_iEESI_iiiiiiiii,comdat
	.globl	_ZN2at6native12_GLOBAL__N_143conv_depthwise3d_cuda_backward_input_kernelIddLi3ELi3ELi3ELin1ELin1ELin1ELi1ELi1ELi1EEEvN5torch10headeronly6detail27GenericPackedTensorAccessorINS5_14TensorAccessorIN3c108ArrayRefIlEEKT_Lm4ENS4_16DefaultPtrTraitsEiEENS_6detail16IndexBoundsCheckILm5EiEESC_Lm5ESD_iEENS6_INS7_ISA_SB_Lm4ESD_iEESH_SB_Lm5ESD_iEESI_iiiiiiiii ; -- Begin function _ZN2at6native12_GLOBAL__N_143conv_depthwise3d_cuda_backward_input_kernelIddLi3ELi3ELi3ELin1ELin1ELin1ELi1ELi1ELi1EEEvN5torch10headeronly6detail27GenericPackedTensorAccessorINS5_14TensorAccessorIN3c108ArrayRefIlEEKT_Lm4ENS4_16DefaultPtrTraitsEiEENS_6detail16IndexBoundsCheckILm5EiEESC_Lm5ESD_iEENS6_INS7_ISA_SB_Lm4ESD_iEESH_SB_Lm5ESD_iEESI_iiiiiiiii
	.p2align	8
	.type	_ZN2at6native12_GLOBAL__N_143conv_depthwise3d_cuda_backward_input_kernelIddLi3ELi3ELi3ELin1ELin1ELin1ELi1ELi1ELi1EEEvN5torch10headeronly6detail27GenericPackedTensorAccessorINS5_14TensorAccessorIN3c108ArrayRefIlEEKT_Lm4ENS4_16DefaultPtrTraitsEiEENS_6detail16IndexBoundsCheckILm5EiEESC_Lm5ESD_iEENS6_INS7_ISA_SB_Lm4ESD_iEESH_SB_Lm5ESD_iEESI_iiiiiiiii,@function
_ZN2at6native12_GLOBAL__N_143conv_depthwise3d_cuda_backward_input_kernelIddLi3ELi3ELi3ELin1ELin1ELin1ELi1ELi1ELi1EEEvN5torch10headeronly6detail27GenericPackedTensorAccessorINS5_14TensorAccessorIN3c108ArrayRefIlEEKT_Lm4ENS4_16DefaultPtrTraitsEiEENS_6detail16IndexBoundsCheckILm5EiEESC_Lm5ESD_iEENS6_INS7_ISA_SB_Lm4ESD_iEESH_SB_Lm5ESD_iEESI_iiiiiiiii: ; @_ZN2at6native12_GLOBAL__N_143conv_depthwise3d_cuda_backward_input_kernelIddLi3ELi3ELi3ELin1ELin1ELin1ELi1ELi1ELi1EEEvN5torch10headeronly6detail27GenericPackedTensorAccessorINS5_14TensorAccessorIN3c108ArrayRefIlEEKT_Lm4ENS4_16DefaultPtrTraitsEiEENS_6detail16IndexBoundsCheckILm5EiEESC_Lm5ESD_iEENS6_INS7_ISA_SB_Lm4ESD_iEESH_SB_Lm5ESD_iEESI_iiiiiiiii
; %bb.0:
	s_load_dwordx4 s[28:31], s[4:5], 0x38
	s_load_dwordx2 s[34:35], s[4:5], 0x48
	s_mov_b64 s[98:99], s[2:3]
	s_mov_b64 s[96:97], s[0:1]
	s_add_u32 s96, s96, s7
	s_addc_u32 s97, s97, 0
	s_waitcnt lgkmcnt(0)
	s_abs_i32 s33, s29
	v_cvt_f32_u32_e32 v2, s33
	s_load_dword s2, s[4:5], 0xc4
	s_add_u32 s0, s4, 0xb8
	v_mov_b32_e32 v1, 0
	v_rcp_iflag_f32_e32 v2, v2
	v_mov_b32_e32 v3, s6
	s_addc_u32 s1, s5, 0
	s_waitcnt lgkmcnt(0)
	s_and_b32 s2, s2, 0xffff
	v_mul_f32_e32 v2, 0x4f7ffffe, v2
	v_mad_u64_u32 v[9:10], s[6:7], s2, v3, v[0:1]
	v_cvt_u32_f32_e32 v0, v2
	s_mul_i32 s6, s35, s28
	s_ashr_i32 s7, s6, 31
                                        ; implicit-def: $vgpr63 : SGPR spill to VGPR lane
	v_writelane_b32 v63, s6, 0
	v_cmp_gt_i64_e32 vcc, s[6:7], v[9:10]
	v_writelane_b32 v63, s7, 1
	v_readfirstlane_b32 s3, v0
	s_and_saveexec_b64 s[6:7], vcc
	s_cbranch_execz .LBB14_62
; %bb.1:
	s_load_dwordx4 s[36:39], s[4:5], 0xc
	s_load_dwordx2 s[8:9], s[4:5], 0x0
	s_sub_i32 s6, 0, s33
	s_ashr_i32 s10, s29, 31
	s_load_dwordx2 s[52:53], s[4:5], 0xac
	s_waitcnt lgkmcnt(0)
	s_ashr_i32 s7, s36, 31
	v_writelane_b32 v63, s8, 2
	v_writelane_b32 v63, s9, 3
	s_mul_i32 s9, s6, s3
	s_mul_hi_u32 s9, s3, s9
	s_abs_i32 s8, s36
	s_add_i32 s3, s3, s9
	s_mul_hi_u32 s3, s8, s3
	s_mul_i32 s9, s3, s33
	s_sub_i32 s8, s8, s9
	v_writelane_b32 v63, s10, 4
	s_xor_b32 s7, s7, s10
	s_add_i32 s9, s3, 1
	s_sub_i32 s10, s8, s33
	s_cmp_ge_u32 s8, s33
	s_cselect_b32 s3, s9, s3
	s_cselect_b32 s8, s10, s8
	s_add_i32 s9, s3, 1
	s_cmp_ge_u32 s8, s33
	s_cselect_b32 s3, s9, s3
	s_xor_b32 s3, s3, s7
	s_sub_i32 s36, s3, s7
	s_cmp_gt_i32 s36, 0
	s_load_dword s3, s[0:1], 0x0
	s_cselect_b64 s[0:1], -1, 0
	s_abs_i32 s28, s34
	v_cvt_f32_u32_e32 v1, s28
	s_load_dwordx4 s[40:43], s[4:5], 0x9c
	s_load_dword s7, s[4:5], 0x7c
	s_load_dwordx2 s[8:9], s[4:5], 0x60
	s_load_dwordx4 s[44:47], s[4:5], 0x50
	v_rcp_iflag_f32_e32 v1, v1
	s_waitcnt lgkmcnt(0)
	s_mul_i32 s2, s3, s2
	v_writelane_b32 v63, s7, 5
	v_writelane_b32 v63, s8, 6
	;; [unrolled: 1-line block ×3, first 2 shown]
	v_mul_f32_e32 v1, 0x4f7ffffe, v1
	v_writelane_b32 v63, s2, 8
	s_lshl_b32 s2, s53, 1
	v_cvt_u32_f32_e32 v1, v1
	v_writelane_b32 v63, s2, 9
	s_lshl_b32 s2, s52, 1
	v_writelane_b32 v63, s2, 10
	s_lshl_b32 s2, s43, 1
	v_writelane_b32 v63, s2, 11
	s_sub_i32 s2, 0, s28
	v_mul_lo_u32 v2, s2, v1
	s_abs_i32 s50, s31
	v_cvt_f32_u32_e32 v3, s50
	s_abs_i32 s51, s30
	v_cvt_f32_u32_e32 v4, s51
	v_mul_hi_u32 v2, v1, v2
	v_rcp_iflag_f32_e32 v3, v3
	s_load_dwordx2 s[54:55], s[4:5], 0x1c
	s_load_dwordx2 s[56:57], s[4:5], 0x30
	v_rcp_iflag_f32_e32 v4, v4
	v_add_u32_e32 v1, v1, v2
	buffer_store_dword v1, off, s[96:99], 0 offset:480 ; 4-byte Folded Spill
	v_mul_f32_e32 v1, 0x4f7ffffe, v3
	v_cvt_u32_f32_e32 v1, v1
	v_mul_f32_e32 v2, 0x4f7ffffe, v4
	v_cvt_u32_f32_e32 v2, v2
	v_mul_lo_u32 v5, s6, v0
	s_ashr_i32 s2, s34, 31
	v_writelane_b32 v63, s2, 12
	s_sub_i32 s2, 0, s50
	v_mul_lo_u32 v3, s2, v1
	s_sub_i32 s2, 0, s51
	v_mul_lo_u32 v4, s2, v2
	v_mul_hi_u32 v5, v0, v5
	v_mul_hi_u32 v3, v1, v3
	s_ashr_i32 s2, s31, 31
	v_mul_hi_u32 v4, v2, v4
	v_add_u32_e32 v0, v0, v5
	v_writelane_b32 v63, s2, 13
	s_ashr_i32 s2, s30, 31
	buffer_store_dword v0, off, s[96:99], 0 offset:492 ; 4-byte Folded Spill
	v_cndmask_b32_e64 v0, 0, 1, s[0:1]
	v_writelane_b32 v63, s2, 14
	v_cmp_ne_u32_e64 s[0:1], 1, v0
	v_add_u32_e32 v1, v1, v3
	v_writelane_b32 v63, s0, 15
	buffer_store_dword v1, off, s[96:99], 0 offset:484 ; 4-byte Folded Spill
	v_add_u32_e32 v1, v2, v4
	s_mov_b64 s[60:61], 0
	v_writelane_b32 v63, s1, 16
                                        ; kill: killed $sgpr4 killed $sgpr5
	buffer_store_dword v1, off, s[96:99], 0 offset:488 ; 4-byte Folded Spill
	s_branch .LBB14_4
.LBB14_2:                               ;   in Loop: Header=BB14_4 Depth=1
	s_or_b64 exec, exec, s[10:11]
	buffer_load_dword v9, off, s[96:99], 0 offset:452 ; 4-byte Folded Reload
	buffer_load_dword v10, off, s[96:99], 0 offset:456 ; 4-byte Folded Reload
	;; [unrolled: 1-line block ×7, first 2 shown]
.LBB14_3:                               ;   in Loop: Header=BB14_4 Depth=1
	s_waitcnt vmcnt(1)
	v_mul_lo_u32 v0, v22, s35
	s_waitcnt vmcnt(0)
	v_mul_lo_u32 v2, s44, v59
	s_waitcnt lgkmcnt(0)
	v_mov_b32_e32 v3, s57
	v_readlane_b32 s0, v63, 8
	v_ashrrev_i32_e32 v1, 31, v0
	v_lshlrev_b64 v[0:1], 3, v[0:1]
	v_add_co_u32_e32 v4, vcc, s56, v0
	v_addc_co_u32_e32 v5, vcc, v3, v1, vcc
	v_ashrrev_i32_e32 v3, 31, v2
	v_lshlrev_b64 v[0:1], 3, v[2:3]
	v_mul_lo_u32 v2, s45, v7
	v_add_co_u32_e32 v4, vcc, v4, v0
	v_addc_co_u32_e32 v5, vcc, v5, v1, vcc
	v_ashrrev_i32_e32 v3, 31, v2
	v_lshlrev_b64 v[0:1], 3, v[2:3]
	v_mul_lo_u32 v2, s46, v6
	;; [unrolled: 5-line block ×3, first 2 shown]
	v_add_co_u32_e32 v4, vcc, v4, v0
	v_addc_co_u32_e32 v5, vcc, v5, v1, vcc
	v_ashrrev_i32_e32 v3, 31, v2
	v_add_co_u32_e32 v9, vcc, s0, v9
	v_readlane_b32 s0, v63, 0
	v_lshlrev_b64 v[0:1], 3, v[2:3]
	v_addc_co_u32_e32 v10, vcc, 0, v10, vcc
	v_readlane_b32 s1, v63, 1
	v_cmp_le_i64_e32 vcc, s[0:1], v[9:10]
	v_add_co_u32_e64 v0, s[2:3], v4, v0
	v_addc_co_u32_e64 v1, s[2:3], v5, v1, s[2:3]
	s_or_b64 s[60:61], vcc, s[60:61]
	global_store_dwordx2 v[0:1], v[12:13], off
	s_andn2_b64 exec, exec, s[60:61]
	s_cbranch_execz .LBB14_62
.LBB14_4:                               ; =>This Loop Header: Depth=1
                                        ;     Child Loop BB14_7 Depth 2
	buffer_load_dword v1, off, s[96:99], 0 offset:480 ; 4-byte Folded Reload
	v_sub_u32_e32 v0, 0, v9
	v_max_i32_e32 v0, v9, v0
	v_ashrrev_i32_e32 v3, 31, v9
	v_readlane_b32 s0, v63, 12
	v_xor_b32_e32 v3, s0, v3
	v_readlane_b32 s0, v63, 13
	s_waitcnt vmcnt(0)
	v_mul_hi_u32 v1, v0, v1
	v_mul_lo_u32 v2, v1, s28
	v_add_u32_e32 v4, 1, v1
	v_sub_u32_e32 v0, v0, v2
	v_cmp_le_u32_e32 vcc, s28, v0
	v_subrev_u32_e32 v2, s28, v0
	v_cndmask_b32_e32 v1, v1, v4, vcc
	v_cndmask_b32_e32 v0, v0, v2, vcc
	v_add_u32_e32 v2, 1, v1
	v_cmp_le_u32_e32 vcc, s28, v0
	v_cndmask_b32_e32 v0, v1, v2, vcc
	buffer_load_dword v2, off, s[96:99], 0 offset:484 ; 4-byte Folded Reload
	v_xor_b32_e32 v0, v0, v3
	v_sub_u32_e32 v0, v0, v3
	v_sub_u32_e32 v1, 0, v0
	v_max_i32_e32 v1, v0, v1
	v_ashrrev_i32_e32 v4, 31, v0
	v_xor_b32_e32 v4, s0, v4
	v_readlane_b32 s0, v63, 14
	s_waitcnt vmcnt(0)
	v_mul_hi_u32 v2, v1, v2
	v_mul_lo_u32 v3, v2, s50
	v_add_u32_e32 v5, 1, v2
	v_sub_u32_e32 v1, v1, v3
	v_cmp_le_u32_e32 vcc, s50, v1
	v_subrev_u32_e32 v3, s50, v1
	v_cndmask_b32_e32 v2, v2, v5, vcc
	v_cndmask_b32_e32 v1, v1, v3, vcc
	v_add_u32_e32 v3, 1, v2
	v_cmp_le_u32_e32 vcc, s50, v1
	v_cndmask_b32_e32 v1, v2, v3, vcc
	buffer_load_dword v3, off, s[96:99], 0 offset:488 ; 4-byte Folded Reload
	v_xor_b32_e32 v1, v1, v4
	v_sub_u32_e32 v1, v1, v4
	v_sub_u32_e32 v2, 0, v1
	v_max_i32_e32 v2, v1, v2
	v_ashrrev_i32_e32 v6, 31, v1
	v_xor_b32_e32 v6, s0, v6
	v_mul_lo_u32 v4, v0, s34
	v_readlane_b32 s0, v63, 4
	v_sub_u32_e32 v11, v9, v4
	v_mul_lo_u32 v4, v1, s31
	s_waitcnt vmcnt(0)
	v_mul_hi_u32 v3, v2, v3
	v_mul_lo_u32 v5, v3, s51
	v_add_u32_e32 v7, 1, v3
	v_sub_u32_e32 v2, v2, v5
	v_cmp_le_u32_e32 vcc, s51, v2
	v_subrev_u32_e32 v5, s51, v2
	v_cndmask_b32_e32 v3, v3, v7, vcc
	v_cndmask_b32_e32 v2, v2, v5, vcc
	v_add_u32_e32 v5, 1, v3
	v_cmp_le_u32_e32 vcc, s51, v2
	v_cndmask_b32_e32 v2, v3, v5, vcc
	buffer_load_dword v5, off, s[96:99], 0 offset:492 ; 4-byte Folded Reload
	v_xor_b32_e32 v2, v2, v6
	v_sub_u32_e32 v2, v2, v6
	v_sub_u32_e32 v3, 0, v2
	v_max_i32_e32 v3, v2, v3
	v_ashrrev_i32_e32 v8, 31, v2
	v_xor_b32_e32 v8, s0, v8
	v_mul_lo_u32 v7, v2, s30
	v_readlane_b32 s0, v63, 15
	v_readlane_b32 s1, v63, 16
	v_sub_u32_e32 v7, v1, v7
	s_waitcnt vmcnt(0)
	v_mul_hi_u32 v5, v3, v5
	v_mul_lo_u32 v6, v5, s33
	v_sub_u32_e32 v3, v3, v6
	v_add_u32_e32 v6, 1, v5
	v_cmp_le_u32_e32 vcc, s33, v3
	v_cndmask_b32_e32 v5, v5, v6, vcc
	v_subrev_u32_e32 v6, s33, v3
	v_cndmask_b32_e32 v3, v3, v6, vcc
	v_add_u32_e32 v6, 1, v5
	v_cmp_le_u32_e32 vcc, s33, v3
	v_cndmask_b32_e32 v3, v5, v6, vcc
	v_xor_b32_e32 v3, v3, v8
	v_sub_u32_e32 v22, v3, v8
	v_mul_lo_u32 v3, v22, s29
	v_sub_u32_e32 v6, v0, v4
	s_and_b64 vcc, exec, s[0:1]
	v_sub_u32_e32 v59, v2, v3
	s_cbranch_vccnz .LBB14_61
; %bb.5:                                ;   in Loop: Header=BB14_4 Depth=1
	v_add_u32_e32 v1, s41, v6
	v_add_u32_e32 v24, s42, v11
	v_readlane_b32 s0, v63, 10
	buffer_store_dword v9, off, s[96:99], 0 offset:452 ; 4-byte Folded Spill
	s_nop 0
	buffer_store_dword v10, off, s[96:99], 0 offset:456 ; 4-byte Folded Spill
	buffer_store_dword v7, off, s[96:99], 0 offset:468 ; 4-byte Folded Spill
	v_add_u32_e32 v0, s40, v7
	v_subrev_u32_e32 v5, s0, v1
	v_or_b32_e32 v2, v24, v1
	v_subrev_u32_e32 v25, s53, v24
	v_readlane_b32 s0, v63, 9
	v_or_b32_e32 v3, v2, v0
	v_or_b32_e32 v10, v25, v1
	v_subrev_u32_e32 v26, s0, v24
	v_subrev_u32_e32 v7, s52, v1
	v_cmp_lt_i32_e32 vcc, -1, v3
	v_or_b32_e32 v3, v10, v0
	v_or_b32_e32 v12, v26, v1
	v_cmp_gt_i32_e64 s[20:21], s38, v1
	v_cmp_gt_i32_e64 s[22:23], s39, v24
	;; [unrolled: 1-line block ×4, first 2 shown]
	v_or_b32_e32 v13, v24, v7
	v_cmp_lt_i32_e64 s[2:3], -1, v3
	v_or_b32_e32 v3, v12, v0
	s_and_b64 s[88:89], s[22:23], s[20:21]
	s_and_b64 s[86:87], s[24:25], s[20:21]
	s_and_b64 s[84:85], s[26:27], s[20:21]
	v_cmp_gt_i32_e64 s[20:21], s38, v7
	v_or_b32_e32 v17, v25, v7
	v_cmp_lt_i32_e64 s[4:5], -1, v3
	v_or_b32_e32 v3, v13, v0
	s_and_b64 s[82:83], s[22:23], s[20:21]
	s_and_b64 s[90:91], s[24:25], s[20:21]
	s_and_b64 s[48:49], s[26:27], s[20:21]
	v_cmp_gt_i32_e64 s[20:21], s38, v5
	v_or_b32_e32 v19, v26, v7
	v_cmp_lt_i32_e64 s[6:7], -1, v3
	v_or_b32_e32 v3, v17, v0
	s_and_b64 s[0:1], s[22:23], s[20:21]
	s_and_b64 s[94:95], s[24:25], s[20:21]
	s_and_b64 s[92:93], s[26:27], s[20:21]
	v_cmp_gt_i32_e64 s[20:21], s37, v0
	s_and_b64 s[2:3], s[86:87], s[2:3]
	v_or_b32_e32 v9, v24, v5
	v_cmp_lt_i32_e64 s[8:9], -1, v3
	v_or_b32_e32 v3, v19, v0
	s_and_b64 s[24:25], s[2:3], s[20:21]
	s_and_b64 s[2:3], s[84:85], s[4:5]
	buffer_store_dword v11, off, s[96:99], 0 offset:460 ; 4-byte Folded Spill
	v_cmp_lt_i32_e64 s[10:11], -1, v3
	v_or_b32_e32 v3, v9, v0
	v_or_b32_e32 v11, v25, v5
	s_and_b64 s[26:27], s[2:3], s[20:21]
	s_and_b64 s[2:3], s[82:83], s[6:7]
	v_cmp_lt_i32_e64 s[12:13], -1, v3
	v_or_b32_e32 v3, v11, v0
	v_or_b32_e32 v15, v26, v5
	s_and_b64 s[62:63], s[2:3], s[20:21]
	s_and_b64 s[2:3], s[90:91], s[8:9]
	v_cmp_lt_i32_e64 s[14:15], -1, v3
	v_or_b32_e32 v3, v15, v0
	v_subrev_u32_e32 v14, s43, v0
	s_and_b64 s[64:65], s[2:3], s[20:21]
	s_and_b64 s[2:3], s[48:49], s[10:11]
	v_cmp_lt_i32_e64 s[16:17], -1, v3
	v_or_b32_e32 v3, v2, v14
	s_and_b64 s[66:67], s[2:3], s[20:21]
	s_and_b64 s[2:3], s[0:1], s[12:13]
	v_cmp_lt_i32_e64 s[18:19], -1, v3
	s_and_b64 s[12:13], s[2:3], s[20:21]
	s_and_b64 s[2:3], s[94:95], s[14:15]
	v_or_b32_e32 v3, v10, v14
	s_and_b64 s[22:23], s[88:89], vcc
	s_and_b64 s[14:15], s[2:3], s[20:21]
	s_and_b64 s[2:3], s[92:93], s[16:17]
	v_cmp_lt_i32_e32 vcc, -1, v3
	v_or_b32_e32 v3, v12, v14
	s_and_b64 s[16:17], s[2:3], s[20:21]
	v_or_b32_e32 v4, v13, v14
	v_cmp_lt_i32_e64 s[2:3], -1, v3
	v_cmp_gt_i32_e64 s[4:5], s37, v14
	s_and_b64 s[6:7], s[88:89], s[18:19]
	buffer_store_dword v6, off, s[96:99], 0 offset:464 ; 4-byte Folded Spill
	v_or_b32_e32 v6, v17, v14
	s_and_b64 s[18:19], s[6:7], s[4:5]
	s_and_b64 s[6:7], s[86:87], vcc
	s_and_b64 s[2:3], s[84:85], s[2:3]
	v_cmp_lt_i32_e32 vcc, -1, v4
	v_or_b32_e32 v3, v19, v14
	s_and_b64 s[68:69], s[2:3], s[4:5]
	s_and_b64 s[2:3], s[82:83], vcc
	v_cmp_lt_i32_e32 vcc, -1, v6
	v_or_b32_e32 v8, v9, v14
	s_and_b64 s[70:71], s[2:3], s[4:5]
	s_and_b64 s[2:3], s[90:91], vcc
	;; [unrolled: 4-line block ×4, first 2 shown]
	v_cmp_lt_i32_e32 vcc, -1, v16
	s_and_b64 s[76:77], s[2:3], s[4:5]
	s_and_b64 s[2:3], s[94:95], vcc
	v_cmp_lt_i32_e32 vcc, -1, v18
	s_and_b64 s[78:79], s[2:3], s[4:5]
	s_and_b64 s[2:3], s[92:93], vcc
	v_mul_lo_u32 v42, v59, s36
	s_and_b64 s[80:81], s[2:3], s[4:5]
	v_readlane_b32 s2, v63, 11
	v_subrev_u32_e32 v21, s2, v0
	v_or_b32_e32 v2, v2, v21
	v_readlane_b32 s2, v63, 5
	v_cmp_lt_i32_e32 vcc, -1, v2
	v_mul_lo_u32 v2, s2, v42
	buffer_store_dword v22, off, s[96:99], 0 offset:472 ; 4-byte Folded Spill
	s_waitcnt lgkmcnt(0)
	v_mul_lo_u32 v22, s54, v22
	v_mul_lo_u32 v16, v0, s38
	v_ashrrev_i32_e32 v3, 31, v2
	s_and_b64 s[22:23], s[22:23], s[20:21]
	s_and_b64 s[20:21], s[6:7], s[4:5]
	v_readlane_b32 s4, v63, 6
	v_lshlrev_b64 v[2:3], 3, v[2:3]
	v_readlane_b32 s5, v63, 7
	v_ashrrev_i32_e32 v23, 31, v22
	s_and_b64 s[10:11], s[88:89], vcc
	v_mov_b32_e32 v8, s5
	v_add_u32_e32 v0, v1, v16
	v_readlane_b32 s2, v63, 2
	v_add_co_u32_e32 v2, vcc, s4, v2
	v_lshlrev_b64 v[27:28], 3, v[22:23]
	v_mul_lo_u32 v18, v0, s39
	v_add_u32_e32 v0, v7, v16
	v_readlane_b32 s3, v63, 3
	v_addc_co_u32_e32 v3, vcc, v8, v3, vcc
	v_add_u32_e32 v16, v5, v16
	v_mov_b32_e32 v29, s3
	v_mul_lo_u32 v23, v16, s39
	v_add_co_u32_e32 v16, vcc, s2, v27
	buffer_store_dword v16, off, s[96:99], 0 offset:224 ; 4-byte Folded Spill
	v_addc_co_u32_e32 v16, vcc, v29, v28, vcc
	v_or_b32_e32 v13, v13, v21
	buffer_store_dword v16, off, s[96:99], 0 offset:228 ; 4-byte Folded Spill
	v_or_b32_e32 v16, v10, v21
	v_cmp_lt_i32_e64 s[4:5], -1, v13
	v_or_b32_e32 v13, v17, v21
	v_mul_lo_u32 v28, v14, s38
	v_cmp_lt_i32_e64 s[2:3], -1, v16
	v_cmp_lt_i32_e32 vcc, -1, v13
	v_or_b32_e32 v13, v19, v21
	s_and_b64 s[86:87], s[86:87], s[2:3]
	v_cmp_lt_i32_e64 s[2:3], -1, v13
	v_mul_lo_u32 v13, v21, s38
	v_or_b32_e32 v41, v15, v21
	v_add_u32_e32 v15, v5, v28
	v_add_u32_e32 v4, v24, v18
	;; [unrolled: 1-line block ×4, first 2 shown]
	v_mul_lo_u32 v7, v15, s39
	v_add_u32_e32 v53, v5, v13
	v_ashrrev_i32_e32 v5, 31, v4
	v_mul_lo_u32 v20, v0, s39
	v_lshlrev_b64 v[4:5], 3, v[4:5]
	v_add_u32_e32 v6, v25, v18
	v_mul_lo_u32 v17, v17, s39
	v_add_u32_e32 v33, v24, v7
	v_add_u32_e32 v37, v25, v7
	;; [unrolled: 1-line block ×3, first 2 shown]
	v_ashrrev_i32_e32 v7, 31, v6
	buffer_store_dword v4, off, s[96:99], 0 offset:236 ; 4-byte Folded Spill
	s_nop 0
	buffer_store_dword v5, off, s[96:99], 0 offset:240 ; 4-byte Folded Spill
	v_add_u32_e32 v16, v1, v28
	v_lshlrev_b64 v[4:5], 3, v[6:7]
	v_add_u32_e32 v0, v24, v20
	v_mul_lo_u32 v30, v16, s39
	v_add_u32_e32 v16, v26, v18
	v_add_u32_e32 v1, v1, v13
	;; [unrolled: 1-line block ×7, first 2 shown]
	v_mul_lo_u32 v48, v1, s39
	v_ashrrev_i32_e32 v17, 31, v16
	v_ashrrev_i32_e32 v1, 31, v0
	buffer_store_dword v4, off, s[96:99], 0 offset:244 ; 4-byte Folded Spill
	s_nop 0
	buffer_store_dword v5, off, s[96:99], 0 offset:248 ; 4-byte Folded Spill
	v_lshlrev_b64 v[4:5], 3, v[16:17]
	v_lshlrev_b64 v[0:1], 3, v[0:1]
	v_or_b32_e32 v9, v9, v21
	s_and_b64 s[58:59], s[82:83], s[4:5]
	v_cmp_lt_i32_e64 s[4:5], -1, v9
	v_ashrrev_i32_e32 v9, 31, v8
	buffer_store_dword v4, off, s[96:99], 0 offset:252 ; 4-byte Folded Spill
	s_nop 0
	buffer_store_dword v5, off, s[96:99], 0 offset:256 ; 4-byte Folded Spill
	buffer_store_dword v0, off, s[96:99], 0 offset:260 ; 4-byte Folded Spill
	s_nop 0
	buffer_store_dword v1, off, s[96:99], 0 offset:264 ; 4-byte Folded Spill
	v_lshlrev_b64 v[0:1], 3, v[8:9]
	v_add_u32_e32 v10, v24, v23
	v_or_b32_e32 v14, v12, v21
	v_add_u32_e32 v12, v25, v23
	v_add_u32_e32 v29, v26, v23
	v_ashrrev_i32_e32 v23, 31, v22
	buffer_store_dword v0, off, s[96:99], 0 offset:268 ; 4-byte Folded Spill
	s_nop 0
	buffer_store_dword v1, off, s[96:99], 0 offset:272 ; 4-byte Folded Spill
	v_lshlrev_b64 v[0:1], 3, v[22:23]
	v_or_b32_e32 v11, v11, v21
	v_cmp_lt_i32_e64 s[8:9], -1, v11
	v_ashrrev_i32_e32 v11, 31, v10
	buffer_store_dword v0, off, s[96:99], 0 offset:276 ; 4-byte Folded Spill
	s_nop 0
	buffer_store_dword v1, off, s[96:99], 0 offset:280 ; 4-byte Folded Spill
	v_lshlrev_b64 v[0:1], 3, v[10:11]
	v_ashrrev_i32_e32 v13, 31, v12
	buffer_store_dword v0, off, s[96:99], 0 offset:284 ; 4-byte Folded Spill
	s_nop 0
	buffer_store_dword v1, off, s[96:99], 0 offset:288 ; 4-byte Folded Spill
	v_lshlrev_b64 v[0:1], 3, v[12:13]
	v_cmp_lt_i32_e64 s[6:7], -1, v14
	v_add_u32_e32 v14, v24, v30
	v_add_u32_e32 v18, v25, v30
	;; [unrolled: 1-line block ×3, first 2 shown]
	v_ashrrev_i32_e32 v30, 31, v29
	buffer_store_dword v0, off, s[96:99], 0 offset:292 ; 4-byte Folded Spill
	s_nop 0
	buffer_store_dword v1, off, s[96:99], 0 offset:296 ; 4-byte Folded Spill
	v_lshlrev_b64 v[0:1], 3, v[29:30]
	v_ashrrev_i32_e32 v15, 31, v14
	buffer_store_dword v0, off, s[96:99], 0 offset:300 ; 4-byte Folded Spill
	s_nop 0
	buffer_store_dword v1, off, s[96:99], 0 offset:304 ; 4-byte Folded Spill
	v_lshlrev_b64 v[0:1], 3, v[14:15]
	v_ashrrev_i32_e32 v19, 31, v18
	buffer_store_dword v0, off, s[96:99], 0 offset:308 ; 4-byte Folded Spill
	s_nop 0
	buffer_store_dword v1, off, s[96:99], 0 offset:312 ; 4-byte Folded Spill
	v_lshlrev_b64 v[0:1], 3, v[18:19]
	v_ashrrev_i32_e32 v32, 31, v31
	buffer_store_dword v0, off, s[96:99], 0 offset:316 ; 4-byte Folded Spill
	s_nop 0
	buffer_store_dword v1, off, s[96:99], 0 offset:320 ; 4-byte Folded Spill
	v_lshlrev_b64 v[0:1], 3, v[31:32]
	s_and_b64 s[88:89], s[84:85], s[6:7]
	v_cmp_gt_i32_e64 s[6:7], s37, v21
	v_ashrrev_i32_e32 v21, 31, v20
	buffer_store_dword v0, off, s[96:99], 0 offset:324 ; 4-byte Folded Spill
	s_nop 0
	buffer_store_dword v1, off, s[96:99], 0 offset:328 ; 4-byte Folded Spill
	v_lshlrev_b64 v[0:1], 3, v[20:21]
	v_ashrrev_i32_e32 v28, 31, v27
	buffer_store_dword v0, off, s[96:99], 0 offset:332 ; 4-byte Folded Spill
	s_nop 0
	buffer_store_dword v1, off, s[96:99], 0 offset:336 ; 4-byte Folded Spill
	v_lshlrev_b64 v[0:1], 3, v[27:28]
	;; [unrolled: 5-line block ×6, first 2 shown]
	v_add_u32_e32 v43, v24, v48
	v_ashrrev_i32_e32 v44, 31, v43
	buffer_store_dword v0, off, s[96:99], 0 offset:372 ; 4-byte Folded Spill
	s_nop 0
	buffer_store_dword v1, off, s[96:99], 0 offset:376 ; 4-byte Folded Spill
	v_lshlrev_b64 v[0:1], 3, v[43:44]
	v_add_u32_e32 v45, v25, v48
	v_ashrrev_i32_e32 v46, 31, v45
	buffer_store_dword v0, off, s[96:99], 0 offset:380 ; 4-byte Folded Spill
	s_nop 0
	buffer_store_dword v1, off, s[96:99], 0 offset:384 ; 4-byte Folded Spill
	s_and_b64 s[82:83], s[10:11], s[6:7]
	v_cmp_lt_i32_e64 s[10:11], -1, v41
	v_mul_lo_u32 v41, v47, s39
	v_lshlrev_b64 v[0:1], 3, v[45:46]
	v_add_u32_e32 v47, v26, v48
	v_ashrrev_i32_e32 v48, 31, v47
	buffer_store_dword v0, off, s[96:99], 0 offset:388 ; 4-byte Folded Spill
	s_nop 0
	buffer_store_dword v1, off, s[96:99], 0 offset:392 ; 4-byte Folded Spill
	v_lshlrev_b64 v[0:1], 3, v[47:48]
	v_add_u32_e32 v49, v24, v41
	v_ashrrev_i32_e32 v50, 31, v49
	buffer_store_dword v0, off, s[96:99], 0 offset:396 ; 4-byte Folded Spill
	s_nop 0
	buffer_store_dword v1, off, s[96:99], 0 offset:400 ; 4-byte Folded Spill
	;; [unrolled: 6-line block ×3, first 2 shown]
	v_mul_lo_u32 v57, v53, s39
	v_lshlrev_b64 v[0:1], 3, v[51:52]
	v_add_u32_e32 v53, v26, v41
	v_ashrrev_i32_e32 v54, 31, v53
	buffer_store_dword v0, off, s[96:99], 0 offset:412 ; 4-byte Folded Spill
	s_nop 0
	buffer_store_dword v1, off, s[96:99], 0 offset:416 ; 4-byte Folded Spill
	v_lshlrev_b64 v[0:1], 3, v[53:54]
	v_add_u32_e32 v55, v24, v57
	v_ashrrev_i32_e32 v56, 31, v55
	buffer_store_dword v0, off, s[96:99], 0 offset:420 ; 4-byte Folded Spill
	s_nop 0
	buffer_store_dword v1, off, s[96:99], 0 offset:424 ; 4-byte Folded Spill
	v_lshlrev_b64 v[0:1], 3, v[55:56]
	v_add_u32_e32 v24, v25, v57
	s_and_b64 s[0:1], s[0:1], s[4:5]
	v_ashrrev_i32_e32 v25, 31, v24
	buffer_store_dword v0, off, s[96:99], 0 offset:428 ; 4-byte Folded Spill
	s_nop 0
	buffer_store_dword v1, off, s[96:99], 0 offset:432 ; 4-byte Folded Spill
	s_and_b64 s[4:5], s[0:1], s[6:7]
	s_and_b64 s[0:1], s[94:95], s[8:9]
	v_lshlrev_b64 v[0:1], 3, v[24:25]
	s_and_b64 s[84:85], s[86:87], s[6:7]
	s_and_b64 s[86:87], s[88:89], s[6:7]
	;; [unrolled: 1-line block ×3, first 2 shown]
	s_and_b64 s[58:59], s[90:91], vcc
	s_and_b64 s[2:3], s[48:49], s[2:3]
	s_and_b64 s[8:9], s[0:1], s[6:7]
	;; [unrolled: 1-line block ×3, first 2 shown]
	v_add_u32_e32 v57, v26, v57
	s_and_b64 s[90:91], s[58:59], s[6:7]
	s_and_b64 s[2:3], s[2:3], s[6:7]
	;; [unrolled: 1-line block ×3, first 2 shown]
	v_ashrrev_i32_e32 v58, 31, v57
	buffer_store_dword v0, off, s[96:99], 0 offset:436 ; 4-byte Folded Spill
	s_nop 0
	buffer_store_dword v1, off, s[96:99], 0 offset:440 ; 4-byte Folded Spill
	s_mul_i32 s0, s55, s36
	v_lshlrev_b64 v[0:1], 3, v[57:58]
	v_mul_lo_u32 v60, s0, v59
	buffer_store_dword v0, off, s[96:99], 0 offset:444 ; 4-byte Folded Spill
	s_nop 0
	buffer_store_dword v1, off, s[96:99], 0 offset:448 ; 4-byte Folded Spill
	v_mov_b32_e32 v12, 0
	s_mov_b64 s[10:11], 0
	v_add_u32_e32 v0, s36, v42
	v_mov_b32_e32 v13, 0
	buffer_store_dword v0, off, s[96:99], 0 offset:232 ; 4-byte Folded Spill
	buffer_store_dword v59, off, s[96:99], 0 offset:476 ; 4-byte Folded Spill
	s_branch .LBB14_7
.LBB14_6:                               ;   in Loop: Header=BB14_7 Depth=2
	s_or_b64 exec, exec, s[0:1]
	buffer_load_dword v61, off, s[96:99], 0 offset:88 ; 4-byte Folded Reload
	buffer_load_dword v62, off, s[96:99], 0 offset:92 ; 4-byte Folded Reload
	;; [unrolled: 1-line block ×4, first 2 shown]
	v_add_co_u32_e32 v2, vcc, 0xd8, v2
	v_addc_co_u32_e32 v3, vcc, 0, v3, vcc
	v_add_u32_e32 v42, 1, v42
	v_add_u32_e32 v60, s55, v60
	s_waitcnt vmcnt(0)
	v_fma_f64 v[61:62], v[6:7], v[48:49], v[61:62]
	buffer_load_dword v6, off, s[96:99], 0 offset:104 ; 4-byte Folded Reload
	buffer_load_dword v7, off, s[96:99], 0 offset:108 ; 4-byte Folded Reload
	;; [unrolled: 1-line block ×4, first 2 shown]
	s_waitcnt vmcnt(0)
	v_fma_f64 v[61:62], v[6:7], v[48:49], v[61:62]
	buffer_load_dword v6, off, s[96:99], 0  ; 4-byte Folded Reload
	buffer_load_dword v7, off, s[96:99], 0 offset:4 ; 4-byte Folded Reload
	buffer_load_dword v48, off, s[96:99], 0 offset:112 ; 4-byte Folded Reload
	buffer_load_dword v49, off, s[96:99], 0 offset:116 ; 4-byte Folded Reload
	s_waitcnt vmcnt(0)
	v_fma_f64 v[61:62], v[48:49], v[6:7], v[61:62]
	buffer_load_dword v6, off, s[96:99], 0 offset:120 ; 4-byte Folded Reload
	buffer_load_dword v7, off, s[96:99], 0 offset:124 ; 4-byte Folded Reload
	buffer_load_dword v48, off, s[96:99], 0 offset:24 ; 4-byte Folded Reload
	buffer_load_dword v49, off, s[96:99], 0 offset:28 ; 4-byte Folded Reload
	s_waitcnt vmcnt(0)
	v_fma_f64 v[61:62], v[6:7], v[48:49], v[61:62]
	buffer_load_dword v6, off, s[96:99], 0 offset:16 ; 4-byte Folded Reload
	;; [unrolled: 6-line block ×9, first 2 shown]
	buffer_load_dword v7, off, s[96:99], 0 offset:188 ; 4-byte Folded Reload
	s_waitcnt vmcnt(0)
	v_fma_f64 v[50:51], v[6:7], v[50:51], v[61:62]
	buffer_load_dword v6, off, s[96:99], 0 offset:80 ; 4-byte Folded Reload
	buffer_load_dword v7, off, s[96:99], 0 offset:84 ; 4-byte Folded Reload
	;; [unrolled: 1-line block ×4, first 2 shown]
	s_waitcnt vmcnt(0)
	v_fma_f64 v[48:49], v[48:49], v[6:7], v[50:51]
	buffer_load_dword v6, off, s[96:99], 0 offset:200 ; 4-byte Folded Reload
	buffer_load_dword v7, off, s[96:99], 0 offset:204 ; 4-byte Folded Reload
	s_waitcnt vmcnt(0)
	v_fma_f64 v[48:49], v[6:7], v[58:59], v[48:49]
	buffer_load_dword v6, off, s[96:99], 0 offset:208 ; 4-byte Folded Reload
	buffer_load_dword v7, off, s[96:99], 0 offset:212 ; 4-byte Folded Reload
	s_waitcnt vmcnt(0)
	v_fma_f64 v[48:49], v[6:7], v[56:57], v[48:49]
	buffer_load_dword v6, off, s[96:99], 0 offset:216 ; 4-byte Folded Reload
	buffer_load_dword v7, off, s[96:99], 0 offset:220 ; 4-byte Folded Reload
	s_waitcnt vmcnt(0)
	v_fma_f64 v[6:7], v[6:7], v[14:15], v[48:49]
	v_fma_f64 v[6:7], v[20:21], v[12:13], v[6:7]
	;; [unrolled: 1-line block ×12, first 2 shown]
	buffer_load_dword v0, off, s[96:99], 0 offset:232 ; 4-byte Folded Reload
	s_waitcnt vmcnt(0)
	v_cmp_ge_i32_e32 vcc, v42, v0
	s_or_b64 s[10:11], vcc, s[10:11]
	s_andn2_b64 exec, exec, s[10:11]
	s_cbranch_execz .LBB14_2
.LBB14_7:                               ;   Parent Loop BB14_4 Depth=1
                                        ; =>  This Inner Loop Header: Depth=2
	buffer_store_dword v12, off, s[96:99], 0 offset:88 ; 4-byte Folded Spill
	s_nop 0
	buffer_store_dword v13, off, s[96:99], 0 offset:92 ; 4-byte Folded Spill
	buffer_load_dword v4, off, s[96:99], 0 offset:224 ; 4-byte Folded Reload
	v_ashrrev_i32_e32 v61, 31, v60
	v_lshlrev_b64 v[0:1], 3, v[60:61]
	v_mov_b32_e32 v48, 0
	v_mov_b32_e32 v49, 0
	s_waitcnt vmcnt(0)
	v_add_co_u32_e32 v43, vcc, v4, v0
	buffer_load_dword v0, off, s[96:99], 0 offset:228 ; 4-byte Folded Reload
	s_waitcnt vmcnt(0)
	v_addc_co_u32_e32 v61, vcc, v0, v1, vcc
	global_load_dwordx2 v[0:1], v[2:3], off
	s_waitcnt vmcnt(0)
	buffer_store_dword v0, off, s[96:99], 0 offset:96 ; 4-byte Folded Spill
	s_nop 0
	buffer_store_dword v1, off, s[96:99], 0 offset:100 ; 4-byte Folded Spill
	s_and_saveexec_b64 s[0:1], s[22:23]
	s_cbranch_execz .LBB14_9
; %bb.8:                                ;   in Loop: Header=BB14_7 Depth=2
	buffer_load_dword v0, off, s[96:99], 0 offset:236 ; 4-byte Folded Reload
	buffer_load_dword v1, off, s[96:99], 0 offset:240 ; 4-byte Folded Reload
	s_waitcnt vmcnt(1)
	v_add_co_u32_e32 v0, vcc, v43, v0
	s_waitcnt vmcnt(0)
	v_addc_co_u32_e32 v1, vcc, v61, v1, vcc
	global_load_dwordx2 v[48:49], v[0:1], off
.LBB14_9:                               ;   in Loop: Header=BB14_7 Depth=2
	s_or_b64 exec, exec, s[0:1]
	global_load_dwordx2 v[0:1], v[2:3], off offset:8
	s_waitcnt vmcnt(0)
	buffer_store_dword v0, off, s[96:99], 0 offset:104 ; 4-byte Folded Spill
	s_nop 0
	buffer_store_dword v1, off, s[96:99], 0 offset:108 ; 4-byte Folded Spill
	v_mov_b32_e32 v0, 0
	v_mov_b32_e32 v1, 0
	buffer_store_dword v0, off, s[96:99], 0 ; 4-byte Folded Spill
	s_nop 0
	buffer_store_dword v1, off, s[96:99], 0 offset:4 ; 4-byte Folded Spill
	v_mov_b32_e32 v0, 0
	v_mov_b32_e32 v1, 0
	buffer_store_dword v0, off, s[96:99], 0 offset:8 ; 4-byte Folded Spill
	s_nop 0
	buffer_store_dword v1, off, s[96:99], 0 offset:12 ; 4-byte Folded Spill
	s_and_saveexec_b64 s[0:1], s[24:25]
	s_cbranch_execz .LBB14_11
; %bb.10:                               ;   in Loop: Header=BB14_7 Depth=2
	buffer_load_dword v0, off, s[96:99], 0 offset:244 ; 4-byte Folded Reload
	buffer_load_dword v1, off, s[96:99], 0 offset:248 ; 4-byte Folded Reload
	s_waitcnt vmcnt(1)
	v_add_co_u32_e32 v0, vcc, v43, v0
	s_waitcnt vmcnt(0)
	v_addc_co_u32_e32 v1, vcc, v61, v1, vcc
	global_load_dwordx2 v[0:1], v[0:1], off
	s_waitcnt vmcnt(0)
	buffer_store_dword v0, off, s[96:99], 0 offset:8 ; 4-byte Folded Spill
	s_nop 0
	buffer_store_dword v1, off, s[96:99], 0 offset:12 ; 4-byte Folded Spill
.LBB14_11:                              ;   in Loop: Header=BB14_7 Depth=2
	s_or_b64 exec, exec, s[0:1]
	global_load_dwordx2 v[0:1], v[2:3], off offset:16
	s_waitcnt vmcnt(0)
	buffer_store_dword v0, off, s[96:99], 0 offset:112 ; 4-byte Folded Spill
	s_nop 0
	buffer_store_dword v1, off, s[96:99], 0 offset:116 ; 4-byte Folded Spill
	s_and_saveexec_b64 s[0:1], s[26:27]
	s_cbranch_execz .LBB14_13
; %bb.12:                               ;   in Loop: Header=BB14_7 Depth=2
	buffer_load_dword v0, off, s[96:99], 0 offset:252 ; 4-byte Folded Reload
	buffer_load_dword v1, off, s[96:99], 0 offset:256 ; 4-byte Folded Reload
	s_waitcnt vmcnt(1)
	v_add_co_u32_e32 v0, vcc, v43, v0
	s_waitcnt vmcnt(0)
	v_addc_co_u32_e32 v1, vcc, v61, v1, vcc
	global_load_dwordx2 v[0:1], v[0:1], off
	s_waitcnt vmcnt(0)
	buffer_store_dword v0, off, s[96:99], 0 ; 4-byte Folded Spill
	s_nop 0
	buffer_store_dword v1, off, s[96:99], 0 offset:4 ; 4-byte Folded Spill
.LBB14_13:                              ;   in Loop: Header=BB14_7 Depth=2
	s_or_b64 exec, exec, s[0:1]
	global_load_dwordx2 v[0:1], v[2:3], off offset:24
	s_waitcnt vmcnt(0)
	buffer_store_dword v0, off, s[96:99], 0 offset:120 ; 4-byte Folded Spill
	s_nop 0
	buffer_store_dword v1, off, s[96:99], 0 offset:124 ; 4-byte Folded Spill
	v_mov_b32_e32 v0, 0
	v_mov_b32_e32 v1, 0
	buffer_store_dword v0, off, s[96:99], 0 offset:16 ; 4-byte Folded Spill
	s_nop 0
	buffer_store_dword v1, off, s[96:99], 0 offset:20 ; 4-byte Folded Spill
	v_mov_b32_e32 v0, 0
	v_mov_b32_e32 v1, 0
	buffer_store_dword v0, off, s[96:99], 0 offset:24 ; 4-byte Folded Spill
	s_nop 0
	buffer_store_dword v1, off, s[96:99], 0 offset:28 ; 4-byte Folded Spill
	s_and_saveexec_b64 s[0:1], s[62:63]
	s_cbranch_execz .LBB14_15
; %bb.14:                               ;   in Loop: Header=BB14_7 Depth=2
	buffer_load_dword v0, off, s[96:99], 0 offset:260 ; 4-byte Folded Reload
	buffer_load_dword v1, off, s[96:99], 0 offset:264 ; 4-byte Folded Reload
	s_waitcnt vmcnt(1)
	v_add_co_u32_e32 v0, vcc, v43, v0
	s_waitcnt vmcnt(0)
	v_addc_co_u32_e32 v1, vcc, v61, v1, vcc
	global_load_dwordx2 v[0:1], v[0:1], off
	s_waitcnt vmcnt(0)
	buffer_store_dword v0, off, s[96:99], 0 offset:24 ; 4-byte Folded Spill
	s_nop 0
	buffer_store_dword v1, off, s[96:99], 0 offset:28 ; 4-byte Folded Spill
.LBB14_15:                              ;   in Loop: Header=BB14_7 Depth=2
	s_or_b64 exec, exec, s[0:1]
	global_load_dwordx2 v[0:1], v[2:3], off offset:32
	s_waitcnt vmcnt(0)
	buffer_store_dword v0, off, s[96:99], 0 offset:128 ; 4-byte Folded Spill
	s_nop 0
	buffer_store_dword v1, off, s[96:99], 0 offset:132 ; 4-byte Folded Spill
	s_and_saveexec_b64 s[0:1], s[64:65]
	s_cbranch_execz .LBB14_17
; %bb.16:                               ;   in Loop: Header=BB14_7 Depth=2
	buffer_load_dword v0, off, s[96:99], 0 offset:268 ; 4-byte Folded Reload
	buffer_load_dword v1, off, s[96:99], 0 offset:272 ; 4-byte Folded Reload
	s_waitcnt vmcnt(1)
	v_add_co_u32_e32 v0, vcc, v43, v0
	s_waitcnt vmcnt(0)
	v_addc_co_u32_e32 v1, vcc, v61, v1, vcc
	global_load_dwordx2 v[0:1], v[0:1], off
	s_waitcnt vmcnt(0)
	buffer_store_dword v0, off, s[96:99], 0 offset:16 ; 4-byte Folded Spill
	s_nop 0
	buffer_store_dword v1, off, s[96:99], 0 offset:20 ; 4-byte Folded Spill
.LBB14_17:                              ;   in Loop: Header=BB14_7 Depth=2
	s_or_b64 exec, exec, s[0:1]
	global_load_dwordx2 v[0:1], v[2:3], off offset:40
	s_waitcnt vmcnt(0)
	buffer_store_dword v0, off, s[96:99], 0 offset:136 ; 4-byte Folded Spill
	s_nop 0
	buffer_store_dword v1, off, s[96:99], 0 offset:140 ; 4-byte Folded Spill
	v_mov_b32_e32 v0, 0
	v_mov_b32_e32 v1, 0
	buffer_store_dword v0, off, s[96:99], 0 offset:32 ; 4-byte Folded Spill
	s_nop 0
	buffer_store_dword v1, off, s[96:99], 0 offset:36 ; 4-byte Folded Spill
	v_mov_b32_e32 v0, 0
	v_mov_b32_e32 v1, 0
	buffer_store_dword v0, off, s[96:99], 0 offset:40 ; 4-byte Folded Spill
	s_nop 0
	buffer_store_dword v1, off, s[96:99], 0 offset:44 ; 4-byte Folded Spill
	s_and_saveexec_b64 s[0:1], s[66:67]
	s_cbranch_execz .LBB14_19
; %bb.18:                               ;   in Loop: Header=BB14_7 Depth=2
	buffer_load_dword v0, off, s[96:99], 0 offset:276 ; 4-byte Folded Reload
	buffer_load_dword v1, off, s[96:99], 0 offset:280 ; 4-byte Folded Reload
	s_waitcnt vmcnt(1)
	v_add_co_u32_e32 v0, vcc, v43, v0
	s_waitcnt vmcnt(0)
	v_addc_co_u32_e32 v1, vcc, v61, v1, vcc
	global_load_dwordx2 v[0:1], v[0:1], off
	s_waitcnt vmcnt(0)
	buffer_store_dword v0, off, s[96:99], 0 offset:40 ; 4-byte Folded Spill
	s_nop 0
	buffer_store_dword v1, off, s[96:99], 0 offset:44 ; 4-byte Folded Spill
.LBB14_19:                              ;   in Loop: Header=BB14_7 Depth=2
	s_or_b64 exec, exec, s[0:1]
	global_load_dwordx2 v[0:1], v[2:3], off offset:48
	s_waitcnt vmcnt(0)
	buffer_store_dword v0, off, s[96:99], 0 offset:144 ; 4-byte Folded Spill
	s_nop 0
	buffer_store_dword v1, off, s[96:99], 0 offset:148 ; 4-byte Folded Spill
	s_and_saveexec_b64 s[0:1], s[12:13]
	s_cbranch_execz .LBB14_21
; %bb.20:                               ;   in Loop: Header=BB14_7 Depth=2
	buffer_load_dword v0, off, s[96:99], 0 offset:284 ; 4-byte Folded Reload
	buffer_load_dword v1, off, s[96:99], 0 offset:288 ; 4-byte Folded Reload
	s_waitcnt vmcnt(1)
	v_add_co_u32_e32 v0, vcc, v43, v0
	s_waitcnt vmcnt(0)
	v_addc_co_u32_e32 v1, vcc, v61, v1, vcc
	global_load_dwordx2 v[0:1], v[0:1], off
	s_waitcnt vmcnt(0)
	buffer_store_dword v0, off, s[96:99], 0 offset:32 ; 4-byte Folded Spill
	s_nop 0
	buffer_store_dword v1, off, s[96:99], 0 offset:36 ; 4-byte Folded Spill
.LBB14_21:                              ;   in Loop: Header=BB14_7 Depth=2
	;; [unrolled: 52-line block ×4, first 2 shown]
	s_or_b64 exec, exec, s[0:1]
	global_load_dwordx2 v[0:1], v[2:3], off offset:88
	v_mov_b32_e32 v50, 0
	v_mov_b32_e32 v51, 0
	s_waitcnt vmcnt(0)
	buffer_store_dword v0, off, s[96:99], 0 offset:184 ; 4-byte Folded Spill
	s_nop 0
	buffer_store_dword v1, off, s[96:99], 0 offset:188 ; 4-byte Folded Spill
	v_mov_b32_e32 v0, 0
	v_mov_b32_e32 v1, 0
	buffer_store_dword v0, off, s[96:99], 0 offset:80 ; 4-byte Folded Spill
	s_nop 0
	buffer_store_dword v1, off, s[96:99], 0 offset:84 ; 4-byte Folded Spill
	s_and_saveexec_b64 s[0:1], s[68:69]
	s_cbranch_execz .LBB14_31
; %bb.30:                               ;   in Loop: Header=BB14_7 Depth=2
	buffer_load_dword v0, off, s[96:99], 0 offset:324 ; 4-byte Folded Reload
	buffer_load_dword v1, off, s[96:99], 0 offset:328 ; 4-byte Folded Reload
	s_waitcnt vmcnt(1)
	v_add_co_u32_e32 v0, vcc, v43, v0
	s_waitcnt vmcnt(0)
	v_addc_co_u32_e32 v1, vcc, v61, v1, vcc
	global_load_dwordx2 v[50:51], v[0:1], off
.LBB14_31:                              ;   in Loop: Header=BB14_7 Depth=2
	s_or_b64 exec, exec, s[0:1]
	global_load_dwordx2 v[0:1], v[2:3], off offset:96
	s_waitcnt vmcnt(0)
	buffer_store_dword v0, off, s[96:99], 0 offset:192 ; 4-byte Folded Spill
	s_nop 0
	buffer_store_dword v1, off, s[96:99], 0 offset:196 ; 4-byte Folded Spill
	s_and_saveexec_b64 s[0:1], s[70:71]
	s_cbranch_execz .LBB14_33
; %bb.32:                               ;   in Loop: Header=BB14_7 Depth=2
	buffer_load_dword v0, off, s[96:99], 0 offset:332 ; 4-byte Folded Reload
	buffer_load_dword v1, off, s[96:99], 0 offset:336 ; 4-byte Folded Reload
	s_waitcnt vmcnt(1)
	v_add_co_u32_e32 v0, vcc, v43, v0
	s_waitcnt vmcnt(0)
	v_addc_co_u32_e32 v1, vcc, v61, v1, vcc
	global_load_dwordx2 v[0:1], v[0:1], off
	s_waitcnt vmcnt(0)
	buffer_store_dword v0, off, s[96:99], 0 offset:80 ; 4-byte Folded Spill
	s_nop 0
	buffer_store_dword v1, off, s[96:99], 0 offset:84 ; 4-byte Folded Spill
.LBB14_33:                              ;   in Loop: Header=BB14_7 Depth=2
	s_or_b64 exec, exec, s[0:1]
	global_load_dwordx2 v[0:1], v[2:3], off offset:104
	v_mov_b32_e32 v56, 0
	v_mov_b32_e32 v58, 0
	;; [unrolled: 1-line block ×4, first 2 shown]
	s_waitcnt vmcnt(0)
	buffer_store_dword v0, off, s[96:99], 0 offset:200 ; 4-byte Folded Spill
	s_nop 0
	buffer_store_dword v1, off, s[96:99], 0 offset:204 ; 4-byte Folded Spill
	s_and_saveexec_b64 s[0:1], s[72:73]
	s_cbranch_execz .LBB14_35
; %bb.34:                               ;   in Loop: Header=BB14_7 Depth=2
	buffer_load_dword v0, off, s[96:99], 0 offset:340 ; 4-byte Folded Reload
	buffer_load_dword v1, off, s[96:99], 0 offset:344 ; 4-byte Folded Reload
	s_waitcnt vmcnt(1)
	v_add_co_u32_e32 v0, vcc, v43, v0
	s_waitcnt vmcnt(0)
	v_addc_co_u32_e32 v1, vcc, v61, v1, vcc
	global_load_dwordx2 v[58:59], v[0:1], off
.LBB14_35:                              ;   in Loop: Header=BB14_7 Depth=2
	s_or_b64 exec, exec, s[0:1]
	global_load_dwordx2 v[0:1], v[2:3], off offset:112
	s_waitcnt vmcnt(0)
	buffer_store_dword v0, off, s[96:99], 0 offset:208 ; 4-byte Folded Spill
	s_nop 0
	buffer_store_dword v1, off, s[96:99], 0 offset:212 ; 4-byte Folded Spill
	s_and_saveexec_b64 s[0:1], s[74:75]
	s_cbranch_execz .LBB14_37
; %bb.36:                               ;   in Loop: Header=BB14_7 Depth=2
	buffer_load_dword v0, off, s[96:99], 0 offset:348 ; 4-byte Folded Reload
	buffer_load_dword v1, off, s[96:99], 0 offset:352 ; 4-byte Folded Reload
	s_waitcnt vmcnt(1)
	v_add_co_u32_e32 v0, vcc, v43, v0
	s_waitcnt vmcnt(0)
	v_addc_co_u32_e32 v1, vcc, v61, v1, vcc
	global_load_dwordx2 v[56:57], v[0:1], off
.LBB14_37:                              ;   in Loop: Header=BB14_7 Depth=2
	s_or_b64 exec, exec, s[0:1]
	global_load_dwordx2 v[0:1], v[2:3], off offset:120
	v_mov_b32_e32 v12, 0
	v_mov_b32_e32 v14, 0
	;; [unrolled: 1-line block ×4, first 2 shown]
	s_waitcnt vmcnt(0)
	buffer_store_dword v0, off, s[96:99], 0 offset:216 ; 4-byte Folded Spill
	s_nop 0
	buffer_store_dword v1, off, s[96:99], 0 offset:220 ; 4-byte Folded Spill
	s_and_saveexec_b64 s[0:1], s[76:77]
	s_cbranch_execz .LBB14_39
; %bb.38:                               ;   in Loop: Header=BB14_7 Depth=2
	buffer_load_dword v0, off, s[96:99], 0 offset:356 ; 4-byte Folded Reload
	buffer_load_dword v1, off, s[96:99], 0 offset:360 ; 4-byte Folded Reload
	s_waitcnt vmcnt(1)
	v_add_co_u32_e32 v0, vcc, v43, v0
	s_waitcnt vmcnt(0)
	v_addc_co_u32_e32 v1, vcc, v61, v1, vcc
	global_load_dwordx2 v[14:15], v[0:1], off
.LBB14_39:                              ;   in Loop: Header=BB14_7 Depth=2
	s_or_b64 exec, exec, s[0:1]
	global_load_dwordx2 v[20:21], v[2:3], off offset:128
	s_and_saveexec_b64 s[0:1], s[78:79]
	s_cbranch_execz .LBB14_41
; %bb.40:                               ;   in Loop: Header=BB14_7 Depth=2
	buffer_load_dword v0, off, s[96:99], 0 offset:364 ; 4-byte Folded Reload
	buffer_load_dword v1, off, s[96:99], 0 offset:368 ; 4-byte Folded Reload
	s_waitcnt vmcnt(1)
	v_add_co_u32_e32 v0, vcc, v43, v0
	s_waitcnt vmcnt(0)
	v_addc_co_u32_e32 v1, vcc, v61, v1, vcc
	global_load_dwordx2 v[12:13], v[0:1], off
.LBB14_41:                              ;   in Loop: Header=BB14_7 Depth=2
	s_or_b64 exec, exec, s[0:1]
	global_load_dwordx2 v[22:23], v[2:3], off offset:136
	v_mov_b32_e32 v0, 0
	v_mov_b32_e32 v28, 0
	v_mov_b32_e32 v1, 0
	v_mov_b32_e32 v29, 0
	s_and_saveexec_b64 s[0:1], s[80:81]
	s_cbranch_execz .LBB14_43
; %bb.42:                               ;   in Loop: Header=BB14_7 Depth=2
	buffer_load_dword v4, off, s[96:99], 0 offset:372 ; 4-byte Folded Reload
	buffer_load_dword v5, off, s[96:99], 0 offset:376 ; 4-byte Folded Reload
	s_waitcnt vmcnt(1)
	v_add_co_u32_e32 v4, vcc, v43, v4
	s_waitcnt vmcnt(0)
	v_addc_co_u32_e32 v5, vcc, v61, v5, vcc
	global_load_dwordx2 v[28:29], v[4:5], off
.LBB14_43:                              ;   in Loop: Header=BB14_7 Depth=2
	s_or_b64 exec, exec, s[0:1]
	global_load_dwordx2 v[30:31], v[2:3], off offset:144
	s_and_saveexec_b64 s[0:1], s[82:83]
	s_cbranch_execz .LBB14_45
; %bb.44:                               ;   in Loop: Header=BB14_7 Depth=2
	buffer_load_dword v0, off, s[96:99], 0 offset:380 ; 4-byte Folded Reload
	buffer_load_dword v1, off, s[96:99], 0 offset:384 ; 4-byte Folded Reload
	s_waitcnt vmcnt(1)
	v_add_co_u32_e32 v0, vcc, v43, v0
	s_waitcnt vmcnt(0)
	v_addc_co_u32_e32 v1, vcc, v61, v1, vcc
	global_load_dwordx2 v[0:1], v[0:1], off
.LBB14_45:                              ;   in Loop: Header=BB14_7 Depth=2
	s_or_b64 exec, exec, s[0:1]
	global_load_dwordx2 v[8:9], v[2:3], off offset:152
	v_mov_b32_e32 v10, 0
	v_mov_b32_e32 v36, 0
	v_mov_b32_e32 v11, 0
	v_mov_b32_e32 v37, 0
	;; [unrolled: 30-line block ×5, first 2 shown]
	s_and_saveexec_b64 s[0:1], s[8:9]
	s_cbranch_execz .LBB14_59
; %bb.58:                               ;   in Loop: Header=BB14_7 Depth=2
	buffer_load_dword v40, off, s[96:99], 0 offset:436 ; 4-byte Folded Reload
	buffer_load_dword v41, off, s[96:99], 0 offset:440 ; 4-byte Folded Reload
	s_waitcnt vmcnt(1)
	v_add_co_u32_e32 v40, vcc, v43, v40
	s_waitcnt vmcnt(0)
	v_addc_co_u32_e32 v41, vcc, v61, v41, vcc
	global_load_dwordx2 v[54:55], v[40:41], off
.LBB14_59:                              ;   in Loop: Header=BB14_7 Depth=2
	s_or_b64 exec, exec, s[0:1]
	global_load_dwordx2 v[40:41], v[2:3], off offset:208
	s_and_saveexec_b64 s[0:1], s[6:7]
	s_cbranch_execz .LBB14_6
; %bb.60:                               ;   in Loop: Header=BB14_7 Depth=2
	buffer_load_dword v52, off, s[96:99], 0 offset:444 ; 4-byte Folded Reload
	buffer_load_dword v53, off, s[96:99], 0 offset:448 ; 4-byte Folded Reload
	s_waitcnt vmcnt(1)
	v_add_co_u32_e32 v52, vcc, v43, v52
	s_waitcnt vmcnt(0)
	v_addc_co_u32_e32 v53, vcc, v61, v53, vcc
	global_load_dwordx2 v[52:53], v[52:53], off
	s_branch .LBB14_6
.LBB14_61:                              ;   in Loop: Header=BB14_4 Depth=1
	v_mov_b32_e32 v12, 0
	v_mov_b32_e32 v13, 0
	s_branch .LBB14_3
.LBB14_62:
	s_endpgm
	.section	.rodata,"a",@progbits
	.p2align	6, 0x0
	.amdhsa_kernel _ZN2at6native12_GLOBAL__N_143conv_depthwise3d_cuda_backward_input_kernelIddLi3ELi3ELi3ELin1ELin1ELin1ELi1ELi1ELi1EEEvN5torch10headeronly6detail27GenericPackedTensorAccessorINS5_14TensorAccessorIN3c108ArrayRefIlEEKT_Lm4ENS4_16DefaultPtrTraitsEiEENS_6detail16IndexBoundsCheckILm5EiEESC_Lm5ESD_iEENS6_INS7_ISA_SB_Lm4ESD_iEESH_SB_Lm5ESD_iEESI_iiiiiiiii
		.amdhsa_group_segment_fixed_size 0
		.amdhsa_private_segment_fixed_size 500
		.amdhsa_kernarg_size 440
		.amdhsa_user_sgpr_count 6
		.amdhsa_user_sgpr_private_segment_buffer 1
		.amdhsa_user_sgpr_dispatch_ptr 0
		.amdhsa_user_sgpr_queue_ptr 0
		.amdhsa_user_sgpr_kernarg_segment_ptr 1
		.amdhsa_user_sgpr_dispatch_id 0
		.amdhsa_user_sgpr_flat_scratch_init 0
		.amdhsa_user_sgpr_private_segment_size 0
		.amdhsa_uses_dynamic_stack 0
		.amdhsa_system_sgpr_private_segment_wavefront_offset 1
		.amdhsa_system_sgpr_workgroup_id_x 1
		.amdhsa_system_sgpr_workgroup_id_y 0
		.amdhsa_system_sgpr_workgroup_id_z 0
		.amdhsa_system_sgpr_workgroup_info 0
		.amdhsa_system_vgpr_workitem_id 0
		.amdhsa_next_free_vgpr 64
		.amdhsa_next_free_sgpr 100
		.amdhsa_reserve_vcc 1
		.amdhsa_reserve_flat_scratch 0
		.amdhsa_float_round_mode_32 0
		.amdhsa_float_round_mode_16_64 0
		.amdhsa_float_denorm_mode_32 3
		.amdhsa_float_denorm_mode_16_64 3
		.amdhsa_dx10_clamp 1
		.amdhsa_ieee_mode 1
		.amdhsa_fp16_overflow 0
		.amdhsa_exception_fp_ieee_invalid_op 0
		.amdhsa_exception_fp_denorm_src 0
		.amdhsa_exception_fp_ieee_div_zero 0
		.amdhsa_exception_fp_ieee_overflow 0
		.amdhsa_exception_fp_ieee_underflow 0
		.amdhsa_exception_fp_ieee_inexact 0
		.amdhsa_exception_int_div_zero 0
	.end_amdhsa_kernel
	.section	.text._ZN2at6native12_GLOBAL__N_143conv_depthwise3d_cuda_backward_input_kernelIddLi3ELi3ELi3ELin1ELin1ELin1ELi1ELi1ELi1EEEvN5torch10headeronly6detail27GenericPackedTensorAccessorINS5_14TensorAccessorIN3c108ArrayRefIlEEKT_Lm4ENS4_16DefaultPtrTraitsEiEENS_6detail16IndexBoundsCheckILm5EiEESC_Lm5ESD_iEENS6_INS7_ISA_SB_Lm4ESD_iEESH_SB_Lm5ESD_iEESI_iiiiiiiii,"axG",@progbits,_ZN2at6native12_GLOBAL__N_143conv_depthwise3d_cuda_backward_input_kernelIddLi3ELi3ELi3ELin1ELin1ELin1ELi1ELi1ELi1EEEvN5torch10headeronly6detail27GenericPackedTensorAccessorINS5_14TensorAccessorIN3c108ArrayRefIlEEKT_Lm4ENS4_16DefaultPtrTraitsEiEENS_6detail16IndexBoundsCheckILm5EiEESC_Lm5ESD_iEENS6_INS7_ISA_SB_Lm4ESD_iEESH_SB_Lm5ESD_iEESI_iiiiiiiii,comdat
.Lfunc_end14:
	.size	_ZN2at6native12_GLOBAL__N_143conv_depthwise3d_cuda_backward_input_kernelIddLi3ELi3ELi3ELin1ELin1ELin1ELi1ELi1ELi1EEEvN5torch10headeronly6detail27GenericPackedTensorAccessorINS5_14TensorAccessorIN3c108ArrayRefIlEEKT_Lm4ENS4_16DefaultPtrTraitsEiEENS_6detail16IndexBoundsCheckILm5EiEESC_Lm5ESD_iEENS6_INS7_ISA_SB_Lm4ESD_iEESH_SB_Lm5ESD_iEESI_iiiiiiiii, .Lfunc_end14-_ZN2at6native12_GLOBAL__N_143conv_depthwise3d_cuda_backward_input_kernelIddLi3ELi3ELi3ELin1ELin1ELin1ELi1ELi1ELi1EEEvN5torch10headeronly6detail27GenericPackedTensorAccessorINS5_14TensorAccessorIN3c108ArrayRefIlEEKT_Lm4ENS4_16DefaultPtrTraitsEiEENS_6detail16IndexBoundsCheckILm5EiEESC_Lm5ESD_iEENS6_INS7_ISA_SB_Lm4ESD_iEESH_SB_Lm5ESD_iEESI_iiiiiiiii
                                        ; -- End function
	.set _ZN2at6native12_GLOBAL__N_143conv_depthwise3d_cuda_backward_input_kernelIddLi3ELi3ELi3ELin1ELin1ELin1ELi1ELi1ELi1EEEvN5torch10headeronly6detail27GenericPackedTensorAccessorINS5_14TensorAccessorIN3c108ArrayRefIlEEKT_Lm4ENS4_16DefaultPtrTraitsEiEENS_6detail16IndexBoundsCheckILm5EiEESC_Lm5ESD_iEENS6_INS7_ISA_SB_Lm4ESD_iEESH_SB_Lm5ESD_iEESI_iiiiiiiii.num_vgpr, 64
	.set _ZN2at6native12_GLOBAL__N_143conv_depthwise3d_cuda_backward_input_kernelIddLi3ELi3ELi3ELin1ELin1ELin1ELi1ELi1ELi1EEEvN5torch10headeronly6detail27GenericPackedTensorAccessorINS5_14TensorAccessorIN3c108ArrayRefIlEEKT_Lm4ENS4_16DefaultPtrTraitsEiEENS_6detail16IndexBoundsCheckILm5EiEESC_Lm5ESD_iEENS6_INS7_ISA_SB_Lm4ESD_iEESH_SB_Lm5ESD_iEESI_iiiiiiiii.num_agpr, 0
	.set _ZN2at6native12_GLOBAL__N_143conv_depthwise3d_cuda_backward_input_kernelIddLi3ELi3ELi3ELin1ELin1ELin1ELi1ELi1ELi1EEEvN5torch10headeronly6detail27GenericPackedTensorAccessorINS5_14TensorAccessorIN3c108ArrayRefIlEEKT_Lm4ENS4_16DefaultPtrTraitsEiEENS_6detail16IndexBoundsCheckILm5EiEESC_Lm5ESD_iEENS6_INS7_ISA_SB_Lm4ESD_iEESH_SB_Lm5ESD_iEESI_iiiiiiiii.numbered_sgpr, 100
	.set _ZN2at6native12_GLOBAL__N_143conv_depthwise3d_cuda_backward_input_kernelIddLi3ELi3ELi3ELin1ELin1ELin1ELi1ELi1ELi1EEEvN5torch10headeronly6detail27GenericPackedTensorAccessorINS5_14TensorAccessorIN3c108ArrayRefIlEEKT_Lm4ENS4_16DefaultPtrTraitsEiEENS_6detail16IndexBoundsCheckILm5EiEESC_Lm5ESD_iEENS6_INS7_ISA_SB_Lm4ESD_iEESH_SB_Lm5ESD_iEESI_iiiiiiiii.num_named_barrier, 0
	.set _ZN2at6native12_GLOBAL__N_143conv_depthwise3d_cuda_backward_input_kernelIddLi3ELi3ELi3ELin1ELin1ELin1ELi1ELi1ELi1EEEvN5torch10headeronly6detail27GenericPackedTensorAccessorINS5_14TensorAccessorIN3c108ArrayRefIlEEKT_Lm4ENS4_16DefaultPtrTraitsEiEENS_6detail16IndexBoundsCheckILm5EiEESC_Lm5ESD_iEENS6_INS7_ISA_SB_Lm4ESD_iEESH_SB_Lm5ESD_iEESI_iiiiiiiii.private_seg_size, 500
	.set _ZN2at6native12_GLOBAL__N_143conv_depthwise3d_cuda_backward_input_kernelIddLi3ELi3ELi3ELin1ELin1ELin1ELi1ELi1ELi1EEEvN5torch10headeronly6detail27GenericPackedTensorAccessorINS5_14TensorAccessorIN3c108ArrayRefIlEEKT_Lm4ENS4_16DefaultPtrTraitsEiEENS_6detail16IndexBoundsCheckILm5EiEESC_Lm5ESD_iEENS6_INS7_ISA_SB_Lm4ESD_iEESH_SB_Lm5ESD_iEESI_iiiiiiiii.uses_vcc, 1
	.set _ZN2at6native12_GLOBAL__N_143conv_depthwise3d_cuda_backward_input_kernelIddLi3ELi3ELi3ELin1ELin1ELin1ELi1ELi1ELi1EEEvN5torch10headeronly6detail27GenericPackedTensorAccessorINS5_14TensorAccessorIN3c108ArrayRefIlEEKT_Lm4ENS4_16DefaultPtrTraitsEiEENS_6detail16IndexBoundsCheckILm5EiEESC_Lm5ESD_iEENS6_INS7_ISA_SB_Lm4ESD_iEESH_SB_Lm5ESD_iEESI_iiiiiiiii.uses_flat_scratch, 0
	.set _ZN2at6native12_GLOBAL__N_143conv_depthwise3d_cuda_backward_input_kernelIddLi3ELi3ELi3ELin1ELin1ELin1ELi1ELi1ELi1EEEvN5torch10headeronly6detail27GenericPackedTensorAccessorINS5_14TensorAccessorIN3c108ArrayRefIlEEKT_Lm4ENS4_16DefaultPtrTraitsEiEENS_6detail16IndexBoundsCheckILm5EiEESC_Lm5ESD_iEENS6_INS7_ISA_SB_Lm4ESD_iEESH_SB_Lm5ESD_iEESI_iiiiiiiii.has_dyn_sized_stack, 0
	.set _ZN2at6native12_GLOBAL__N_143conv_depthwise3d_cuda_backward_input_kernelIddLi3ELi3ELi3ELin1ELin1ELin1ELi1ELi1ELi1EEEvN5torch10headeronly6detail27GenericPackedTensorAccessorINS5_14TensorAccessorIN3c108ArrayRefIlEEKT_Lm4ENS4_16DefaultPtrTraitsEiEENS_6detail16IndexBoundsCheckILm5EiEESC_Lm5ESD_iEENS6_INS7_ISA_SB_Lm4ESD_iEESH_SB_Lm5ESD_iEESI_iiiiiiiii.has_recursion, 0
	.set _ZN2at6native12_GLOBAL__N_143conv_depthwise3d_cuda_backward_input_kernelIddLi3ELi3ELi3ELin1ELin1ELin1ELi1ELi1ELi1EEEvN5torch10headeronly6detail27GenericPackedTensorAccessorINS5_14TensorAccessorIN3c108ArrayRefIlEEKT_Lm4ENS4_16DefaultPtrTraitsEiEENS_6detail16IndexBoundsCheckILm5EiEESC_Lm5ESD_iEENS6_INS7_ISA_SB_Lm4ESD_iEESH_SB_Lm5ESD_iEESI_iiiiiiiii.has_indirect_call, 0
	.section	.AMDGPU.csdata,"",@progbits
; Kernel info:
; codeLenInByte = 7036
; TotalNumSgprs: 104
; NumVgprs: 64
; ScratchSize: 500
; MemoryBound: 0
; FloatMode: 240
; IeeeMode: 1
; LDSByteSize: 0 bytes/workgroup (compile time only)
; SGPRBlocks: 12
; VGPRBlocks: 15
; NumSGPRsForWavesPerEU: 104
; NumVGPRsForWavesPerEU: 64
; Occupancy: 4
; WaveLimiterHint : 0
; COMPUTE_PGM_RSRC2:SCRATCH_EN: 1
; COMPUTE_PGM_RSRC2:USER_SGPR: 6
; COMPUTE_PGM_RSRC2:TRAP_HANDLER: 0
; COMPUTE_PGM_RSRC2:TGID_X_EN: 1
; COMPUTE_PGM_RSRC2:TGID_Y_EN: 0
; COMPUTE_PGM_RSRC2:TGID_Z_EN: 0
; COMPUTE_PGM_RSRC2:TIDIG_COMP_CNT: 0
	.section	.text._ZN2at6native12_GLOBAL__N_143conv_depthwise3d_cuda_backward_input_kernelIddLi3ELi3ELi3ELin1ELin1ELin1ELin1ELin1ELin1EEEvN5torch10headeronly6detail27GenericPackedTensorAccessorINS5_14TensorAccessorIN3c108ArrayRefIlEEKT_Lm4ENS4_16DefaultPtrTraitsEiEENS_6detail16IndexBoundsCheckILm5EiEESC_Lm5ESD_iEENS6_INS7_ISA_SB_Lm4ESD_iEESH_SB_Lm5ESD_iEESI_iiiiiiiii,"axG",@progbits,_ZN2at6native12_GLOBAL__N_143conv_depthwise3d_cuda_backward_input_kernelIddLi3ELi3ELi3ELin1ELin1ELin1ELin1ELin1ELin1EEEvN5torch10headeronly6detail27GenericPackedTensorAccessorINS5_14TensorAccessorIN3c108ArrayRefIlEEKT_Lm4ENS4_16DefaultPtrTraitsEiEENS_6detail16IndexBoundsCheckILm5EiEESC_Lm5ESD_iEENS6_INS7_ISA_SB_Lm4ESD_iEESH_SB_Lm5ESD_iEESI_iiiiiiiii,comdat
	.globl	_ZN2at6native12_GLOBAL__N_143conv_depthwise3d_cuda_backward_input_kernelIddLi3ELi3ELi3ELin1ELin1ELin1ELin1ELin1ELin1EEEvN5torch10headeronly6detail27GenericPackedTensorAccessorINS5_14TensorAccessorIN3c108ArrayRefIlEEKT_Lm4ENS4_16DefaultPtrTraitsEiEENS_6detail16IndexBoundsCheckILm5EiEESC_Lm5ESD_iEENS6_INS7_ISA_SB_Lm4ESD_iEESH_SB_Lm5ESD_iEESI_iiiiiiiii ; -- Begin function _ZN2at6native12_GLOBAL__N_143conv_depthwise3d_cuda_backward_input_kernelIddLi3ELi3ELi3ELin1ELin1ELin1ELin1ELin1ELin1EEEvN5torch10headeronly6detail27GenericPackedTensorAccessorINS5_14TensorAccessorIN3c108ArrayRefIlEEKT_Lm4ENS4_16DefaultPtrTraitsEiEENS_6detail16IndexBoundsCheckILm5EiEESC_Lm5ESD_iEENS6_INS7_ISA_SB_Lm4ESD_iEESH_SB_Lm5ESD_iEESI_iiiiiiiii
	.p2align	8
	.type	_ZN2at6native12_GLOBAL__N_143conv_depthwise3d_cuda_backward_input_kernelIddLi3ELi3ELi3ELin1ELin1ELin1ELin1ELin1ELin1EEEvN5torch10headeronly6detail27GenericPackedTensorAccessorINS5_14TensorAccessorIN3c108ArrayRefIlEEKT_Lm4ENS4_16DefaultPtrTraitsEiEENS_6detail16IndexBoundsCheckILm5EiEESC_Lm5ESD_iEENS6_INS7_ISA_SB_Lm4ESD_iEESH_SB_Lm5ESD_iEESI_iiiiiiiii,@function
_ZN2at6native12_GLOBAL__N_143conv_depthwise3d_cuda_backward_input_kernelIddLi3ELi3ELi3ELin1ELin1ELin1ELin1ELin1ELin1EEEvN5torch10headeronly6detail27GenericPackedTensorAccessorINS5_14TensorAccessorIN3c108ArrayRefIlEEKT_Lm4ENS4_16DefaultPtrTraitsEiEENS_6detail16IndexBoundsCheckILm5EiEESC_Lm5ESD_iEENS6_INS7_ISA_SB_Lm4ESD_iEESH_SB_Lm5ESD_iEESI_iiiiiiiii: ; @_ZN2at6native12_GLOBAL__N_143conv_depthwise3d_cuda_backward_input_kernelIddLi3ELi3ELi3ELin1ELin1ELin1ELin1ELin1ELin1EEEvN5torch10headeronly6detail27GenericPackedTensorAccessorINS5_14TensorAccessorIN3c108ArrayRefIlEEKT_Lm4ENS4_16DefaultPtrTraitsEiEENS_6detail16IndexBoundsCheckILm5EiEESC_Lm5ESD_iEENS6_INS7_ISA_SB_Lm4ESD_iEESH_SB_Lm5ESD_iEESI_iiiiiiiii
; %bb.0:
	s_load_dwordx4 s[8:11], s[4:5], 0x38
	s_load_dwordx2 s[16:17], s[4:5], 0x48
	s_mov_b64 s[98:99], s[2:3]
	s_mov_b64 s[96:97], s[0:1]
	s_add_u32 s96, s96, s7
	s_addc_u32 s97, s97, 0
	s_waitcnt lgkmcnt(0)
	s_abs_i32 s0, s9
	v_cvt_f32_u32_e32 v2, s0
	s_load_dword s2, s[4:5], 0xc4
                                        ; implicit-def: $vgpr62 : SGPR spill to VGPR lane
	v_mov_b32_e32 v1, 0
	v_writelane_b32 v62, s0, 0
	v_rcp_iflag_f32_e32 v2, v2
	s_add_u32 s0, s4, 0xb8
	v_mov_b32_e32 v3, s6
	s_addc_u32 s1, s5, 0
	s_waitcnt lgkmcnt(0)
	s_and_b32 s2, s2, 0xffff
	v_mad_u64_u32 v[3:4], s[6:7], s2, v3, v[0:1]
	v_mul_f32_e32 v2, 0x4f7ffffe, v2
	v_writelane_b32 v62, s8, 1
	v_cvt_u32_f32_e32 v0, v2
	v_writelane_b32 v62, s9, 2
	v_mov_b32_e32 v2, v3
	v_writelane_b32 v62, s10, 3
	s_mul_i32 s6, s17, s8
	v_mov_b32_e32 v3, v4
	v_writelane_b32 v62, s11, 4
	s_ashr_i32 s7, s6, 31
	v_writelane_b32 v62, s6, 5
	v_cmp_gt_i64_e32 vcc, s[6:7], v[2:3]
	v_writelane_b32 v62, s7, 6
	v_readfirstlane_b32 s3, v0
	s_and_saveexec_b64 s[6:7], vcc
	s_cbranch_execz .LBB15_63
; %bb.1:
	s_load_dwordx2 s[8:9], s[4:5], 0x0
	s_load_dwordx4 s[20:23], s[4:5], 0xc
	s_load_dwordx4 s[12:15], s[4:5], 0x38
	v_readlane_b32 s11, v62, 0
	s_sub_i32 s6, 0, s11
                                        ; kill: killed $sgpr0 killed $sgpr1
	v_mov_b32_e32 v7, v3
	s_waitcnt lgkmcnt(0)
	v_writelane_b32 v62, s8, 7
	v_writelane_b32 v62, s9, 8
	s_mul_i32 s9, s6, s3
	s_mul_hi_u32 s9, s3, s9
	s_ashr_i32 s7, s20, 31
	v_writelane_b32 v62, s20, 9
	s_abs_i32 s8, s20
	s_add_i32 s3, s3, s9
	v_writelane_b32 v62, s21, 10
	s_mul_hi_u32 s3, s8, s3
	v_writelane_b32 v62, s22, 11
	s_mul_i32 s9, s3, s11
	s_ashr_i32 s10, s13, 31
	v_writelane_b32 v62, s23, 12
	s_sub_i32 s8, s8, s9
	v_writelane_b32 v62, s10, 13
	s_xor_b32 s7, s7, s10
	s_add_i32 s9, s3, 1
	s_sub_i32 s10, s8, s11
	s_cmp_ge_u32 s8, s11
	s_cselect_b32 s3, s9, s3
	s_cselect_b32 s8, s10, s8
	s_add_i32 s9, s3, 1
	s_cmp_ge_u32 s8, s11
	s_cselect_b32 s3, s9, s3
	s_xor_b32 s3, s3, s7
	s_load_dwordx8 s[20:27], s[4:5], 0x90
	s_load_dword s12, s[4:5], 0xb0
	s_sub_i32 s7, s3, s7
	s_load_dword s3, s[0:1], 0x0
	s_load_dword s8, s[4:5], 0x7c
	s_cmp_gt_i32 s7, 0
	s_cselect_b64 s[0:1], -1, 0
	v_mov_b32_e32 v6, v2
	s_waitcnt lgkmcnt(0)
	s_mul_i32 s2, s3, s2
	v_writelane_b32 v62, s8, 14
	s_load_dwordx2 s[70:71], s[4:5], 0x1c
	s_load_dwordx2 s[8:9], s[4:5], 0x30
	s_abs_i32 s3, s15
	v_cvt_f32_u32_e32 v2, s3
                                        ; kill: killed $sgpr4 killed $sgpr5
	s_abs_i32 s33, s22
	s_waitcnt lgkmcnt(0)
	v_writelane_b32 v62, s8, 15
	v_writelane_b32 v62, s9, 16
	s_load_dwordx2 s[8:9], s[4:5], 0x60
	v_writelane_b32 v62, s7, 17
	s_abs_i32 s7, s16
	v_cvt_f32_u32_e32 v1, s7
	v_rcp_iflag_f32_e32 v2, v2
	s_waitcnt lgkmcnt(0)
	v_writelane_b32 v62, s8, 18
	v_writelane_b32 v62, s9, 19
	s_load_dwordx4 s[8:11], s[4:5], 0x50
	v_rcp_iflag_f32_e32 v1, v1
	s_abs_i32 s4, s14
	v_cvt_f32_u32_e32 v4, s4
	v_mul_f32_e32 v2, 0x4f7ffffe, v2
	s_waitcnt lgkmcnt(0)
	v_writelane_b32 v62, s8, 20
	v_writelane_b32 v62, s9, 21
	;; [unrolled: 1-line block ×6, first 2 shown]
	s_lshl_b32 s2, s12, 1
	v_mul_f32_e32 v1, 0x4f7ffffe, v1
	v_writelane_b32 v62, s2, 26
	s_lshl_b32 s2, s27, 1
	v_cvt_u32_f32_e32 v1, v1
	v_writelane_b32 v62, s2, 27
	s_lshl_b32 s2, s26, 1
	v_writelane_b32 v62, s2, 28
	s_ashr_i32 s2, s16, 31
	v_writelane_b32 v62, s2, 29
	s_sub_i32 s2, 0, s7
	v_mul_lo_u32 v3, s2, v1
	v_cvt_u32_f32_e32 v2, v2
	v_rcp_iflag_f32_e32 v4, v4
	s_sub_i32 s2, 0, s3
	v_mul_hi_u32 v3, v1, v3
	v_writelane_b32 v62, s7, 30
	v_writelane_b32 v62, s3, 31
	s_ashr_i32 s3, s14, 31
	v_add_u32_e32 v1, v1, v3
	buffer_store_dword v1, off, s[96:99], 0 offset:484 ; 4-byte Folded Spill
	v_mul_lo_u32 v1, s2, v2
	v_mul_f32_e32 v3, 0x4f7ffffe, v4
	v_cvt_u32_f32_e32 v3, v3
	s_ashr_i32 s2, s15, 31
	v_writelane_b32 v62, s2, 32
	v_mul_hi_u32 v1, v2, v1
	s_sub_i32 s2, 0, s4
	v_mul_lo_u32 v4, s2, v3
	s_abs_i32 s2, s20
	v_cvt_f32_u32_e32 v5, s2
	v_add_u32_e32 v1, v2, v1
	buffer_store_dword v1, off, s[96:99], 0 offset:488 ; 4-byte Folded Spill
	v_mul_hi_u32 v1, v3, v4
	v_mul_lo_u32 v2, s6, v0
	v_rcp_iflag_f32_e32 v4, v5
	v_writelane_b32 v62, s4, 33
	v_writelane_b32 v62, s3, 34
	v_add_u32_e32 v1, v3, v1
	s_abs_i32 s3, s21
	buffer_store_dword v1, off, s[96:99], 0 offset:492 ; 4-byte Folded Spill
	v_mul_hi_u32 v1, v0, v2
	v_cvt_f32_u32_e32 v3, s3
	v_mul_f32_e32 v2, 0x4f7ffffe, v4
	v_cvt_f32_u32_e32 v4, s33
	v_add_u32_e32 v0, v0, v1
	v_rcp_iflag_f32_e32 v3, v3
	buffer_store_dword v0, off, s[96:99], 0 offset:496 ; 4-byte Folded Spill
	v_rcp_iflag_f32_e32 v0, v4
	v_cvt_u32_f32_e32 v2, v2
	v_mul_f32_e32 v3, 0x4f7ffffe, v3
	v_writelane_b32 v62, s2, 35
	s_sub_i32 s2, 0, s2
	v_cvt_u32_f32_e32 v3, v3
	v_mul_f32_e32 v0, 0x4f7ffffe, v0
	v_mul_lo_u32 v5, s2, v2
	v_cvt_u32_f32_e32 v0, v0
	s_sub_i32 s2, 0, s3
	v_mul_lo_u32 v4, s2, v3
	s_sub_i32 s2, 0, s33
	v_mul_hi_u32 v1, v2, v5
	v_writelane_b32 v62, s3, 36
	v_mul_lo_u32 v5, s2, v0
	s_ashr_i32 s2, s20, 31
	v_writelane_b32 v62, s2, 37
	s_ashr_i32 s2, s21, 31
	v_writelane_b32 v62, s2, 38
	v_writelane_b32 v62, s20, 39
	v_add_u32_e32 v1, v2, v1
	v_writelane_b32 v62, s21, 40
	buffer_store_dword v1, off, s[96:99], 0 offset:500 ; 4-byte Folded Spill
	v_mul_hi_u32 v1, v0, v5
	v_writelane_b32 v62, s22, 41
	v_writelane_b32 v62, s23, 42
	v_writelane_b32 v62, s24, 43
	v_writelane_b32 v62, s25, 44
	v_writelane_b32 v62, s26, 45
	v_add_u32_e32 v0, v0, v1
	v_writelane_b32 v62, s27, 46
	s_ashr_i32 s2, s22, 31
	buffer_store_dword v0, off, s[96:99], 0 offset:508 ; 4-byte Folded Spill
	v_cndmask_b32_e64 v0, 0, 1, s[0:1]
	v_writelane_b32 v62, s2, 47
	v_cmp_ne_u32_e64 s[0:1], 1, v0
	v_writelane_b32 v62, s0, 48
	v_mul_hi_u32 v4, v3, v4
	v_writelane_b32 v62, s1, 49
	v_writelane_b32 v62, s16, 50
	;; [unrolled: 1-line block ×4, first 2 shown]
	v_add_u32_e32 v2, v3, v4
	s_mov_b64 s[8:9], 0
	v_writelane_b32 v62, s71, 53
	buffer_store_dword v2, off, s[96:99], 0 offset:504 ; 4-byte Folded Spill
.LBB15_2:                               ; =>This Loop Header: Depth=1
                                        ;     Child Loop BB15_5 Depth 2
	buffer_load_dword v1, off, s[96:99], 0 offset:484 ; 4-byte Folded Reload
	v_sub_u32_e32 v0, 0, v6
	v_max_i32_e32 v0, v6, v0
	v_writelane_b32 v62, s8, 54
	v_writelane_b32 v62, s9, 55
	v_readlane_b32 s0, v62, 30
	v_mov_b32_e32 v9, v7
	v_mov_b32_e32 v8, v6
	v_ashrrev_i32_e32 v3, 31, v8
	v_readlane_b32 s1, v62, 29
	v_xor_b32_e32 v3, s1, v3
	v_readlane_b32 s1, v62, 32
	s_waitcnt vmcnt(0)
	v_mul_hi_u32 v1, v0, v1
	v_mul_lo_u32 v2, v1, s0
	v_add_u32_e32 v4, 1, v1
	v_sub_u32_e32 v0, v0, v2
	v_cmp_le_u32_e32 vcc, s0, v0
	v_subrev_u32_e32 v2, s0, v0
	v_cndmask_b32_e32 v1, v1, v4, vcc
	v_cndmask_b32_e32 v0, v0, v2, vcc
	v_add_u32_e32 v2, 1, v1
	v_cmp_le_u32_e32 vcc, s0, v0
	v_cndmask_b32_e32 v0, v1, v2, vcc
	buffer_load_dword v2, off, s[96:99], 0 offset:488 ; 4-byte Folded Reload
	v_xor_b32_e32 v0, v0, v3
	v_sub_u32_e32 v0, v0, v3
	v_sub_u32_e32 v1, 0, v0
	v_max_i32_e32 v1, v0, v1
	v_readlane_b32 s0, v62, 31
	v_ashrrev_i32_e32 v4, 31, v0
	v_xor_b32_e32 v4, s1, v4
	v_readlane_b32 s1, v62, 34
	s_waitcnt vmcnt(0)
	v_mul_hi_u32 v2, v1, v2
	v_mul_lo_u32 v3, v2, s0
	v_add_u32_e32 v5, 1, v2
	v_sub_u32_e32 v1, v1, v3
	v_cmp_le_u32_e32 vcc, s0, v1
	v_subrev_u32_e32 v3, s0, v1
	v_cndmask_b32_e32 v2, v2, v5, vcc
	v_cndmask_b32_e32 v1, v1, v3, vcc
	v_add_u32_e32 v3, 1, v2
	v_cmp_le_u32_e32 vcc, s0, v1
	v_cndmask_b32_e32 v1, v2, v3, vcc
	buffer_load_dword v3, off, s[96:99], 0 offset:492 ; 4-byte Folded Reload
	v_xor_b32_e32 v1, v1, v4
	v_sub_u32_e32 v1, v1, v4
	v_sub_u32_e32 v2, 0, v1
	v_max_i32_e32 v2, v1, v2
	v_readlane_b32 s0, v62, 33
	v_ashrrev_i32_e32 v6, 31, v1
	v_xor_b32_e32 v6, s1, v6
	v_mul_lo_u32 v4, v0, s16
	s_waitcnt vmcnt(0)
	v_mul_hi_u32 v3, v2, v3
	v_mul_lo_u32 v5, v3, s0
	v_add_u32_e32 v7, 1, v3
	v_sub_u32_e32 v2, v2, v5
	v_cmp_le_u32_e32 vcc, s0, v2
	v_subrev_u32_e32 v5, s0, v2
	v_cndmask_b32_e32 v3, v3, v7, vcc
	v_cndmask_b32_e32 v2, v2, v5, vcc
	v_add_u32_e32 v5, 1, v3
	v_cmp_le_u32_e32 vcc, s0, v2
	v_cndmask_b32_e32 v2, v3, v5, vcc
	buffer_load_dword v5, off, s[96:99], 0 offset:496 ; 4-byte Folded Reload
	s_nop 0
	buffer_store_dword v8, off, s[96:99], 0 offset:456 ; 4-byte Folded Spill
	s_nop 0
	buffer_store_dword v9, off, s[96:99], 0 offset:460 ; 4-byte Folded Spill
	v_xor_b32_e32 v2, v2, v6
	v_sub_u32_e32 v2, v2, v6
	v_sub_u32_e32 v3, 0, v2
	v_max_i32_e32 v3, v2, v3
	v_readlane_b32 s0, v62, 1
	v_readlane_b32 s0, v62, 0
	;; [unrolled: 1-line block ×3, first 2 shown]
	v_mul_lo_u32 v7, v2, s2
	v_readlane_b32 s2, v62, 13
	v_readlane_b32 s1, v62, 2
	;; [unrolled: 1-line block ×3, first 2 shown]
	v_sub_u32_e32 v9, v8, v4
	s_waitcnt vmcnt(2)
	v_mul_hi_u32 v5, v3, v5
	v_ashrrev_i32_e32 v8, 31, v2
	v_xor_b32_e32 v8, s2, v8
	v_mul_lo_u32 v4, v1, s3
	v_mul_lo_u32 v6, v5, s0
	v_sub_u32_e32 v3, v3, v6
	v_add_u32_e32 v6, 1, v5
	v_cmp_le_u32_e32 vcc, s0, v3
	v_cndmask_b32_e32 v5, v5, v6, vcc
	v_subrev_u32_e32 v6, s0, v3
	v_cndmask_b32_e32 v3, v3, v6, vcc
	v_add_u32_e32 v6, 1, v5
	v_cmp_le_u32_e32 vcc, s0, v3
	v_cndmask_b32_e32 v3, v5, v6, vcc
	v_xor_b32_e32 v3, v3, v8
	v_sub_u32_e32 v5, v3, v8
	v_mul_lo_u32 v3, v5, s1
	v_readlane_b32 s0, v62, 48
	v_readlane_b32 s1, v62, 49
	v_sub_u32_e32 v8, v0, v4
	v_sub_u32_e32 v6, v1, v7
	s_and_b64 vcc, exec, s[0:1]
	v_sub_u32_e32 v51, v2, v3
	s_cbranch_vccnz .LBB15_60
; %bb.3:                                ;   in Loop: Header=BB15_2 Depth=1
	buffer_load_dword v17, off, s[96:99], 0 offset:500 ; 4-byte Folded Reload
	buffer_load_dword v12, off, s[96:99], 0 offset:504 ; 4-byte Folded Reload
	;; [unrolled: 1-line block ×3, first 2 shown]
	v_readlane_b32 s52, v62, 39
	v_readlane_b32 s55, v62, 42
	buffer_store_dword v6, off, s[96:99], 0 offset:472 ; 4-byte Folded Spill
	v_add_u32_e32 v6, s55, v6
	v_sub_u32_e32 v2, 0, v6
	v_mul_lo_u32 v1, s70, v5
	v_max_i32_e32 v3, v6, v2
	v_readlane_b32 s0, v62, 7
	v_readlane_b32 s1, v62, 8
	v_readlane_b32 s56, v62, 43
	buffer_store_dword v5, off, s[96:99], 0 offset:480 ; 4-byte Folded Spill
	v_ashrrev_i32_e32 v2, 31, v1
	v_mov_b32_e32 v5, s1
	v_readlane_b32 s1, v62, 35
	buffer_store_dword v8, off, s[96:99], 0 offset:468 ; 4-byte Folded Spill
	v_add_u32_e32 v7, s56, v8
	v_lshlrev_b64 v[1:2], 3, v[1:2]
	v_readlane_b32 s57, v62, 44
	v_add_co_u32_e32 v1, vcc, s0, v1
	buffer_store_dword v1, off, s[96:99], 0 offset:232 ; 4-byte Folded Spill
	v_addc_co_u32_e32 v1, vcc, v5, v2, vcc
	v_sub_u32_e32 v5, 0, v7
	buffer_store_dword v9, off, s[96:99], 0 offset:464 ; 4-byte Folded Spill
	v_add_u32_e32 v0, s57, v9
	v_readlane_b32 s2, v62, 36
	buffer_store_dword v1, off, s[96:99], 0 offset:236 ; 4-byte Folded Spill
	v_ashrrev_i32_e32 v1, 31, v6
	v_readlane_b32 s50, v62, 37
	v_xor_b32_e32 v1, s50, v1
	v_readlane_b32 s0, v62, 27
	v_subrev_u32_e32 v10, s0, v7
	v_readlane_b32 s3, v62, 38
	v_readlane_b32 s6, v62, 47
	;; [unrolled: 1-line block ×3, first 2 shown]
	v_ashrrev_i32_e32 v13, 31, v10
	v_xor_b32_e32 v13, s3, v13
	v_readlane_b32 s0, v62, 28
	v_readlane_b32 s58, v62, 45
	v_subrev_u32_e32 v16, s58, v6
	v_readlane_b32 s68, v62, 9
	v_readlane_b32 s70, v62, 11
	;; [unrolled: 1-line block ×6, first 2 shown]
                                        ; implicit-def: $vgpr63 : SGPR spill to VGPR lane
	v_mov_b32_e32 v60, v51
	s_waitcnt vmcnt(8)
	v_mul_hi_u32 v4, v3, v17
	v_mul_lo_u32 v8, v4, s1
	v_sub_u32_e32 v2, v3, v8
	v_max_i32_e32 v8, v7, v5
	v_add_u32_e32 v3, 1, v4
	v_cmp_le_u32_e32 vcc, s1, v2
	s_waitcnt vmcnt(7)
	v_mul_hi_u32 v9, v8, v12
	v_cndmask_b32_e32 v3, v4, v3, vcc
	v_subrev_u32_e32 v4, s1, v2
	v_cndmask_b32_e32 v2, v2, v4, vcc
	v_add_u32_e32 v4, 1, v3
	v_cmp_le_u32_e32 vcc, s1, v2
	v_cndmask_b32_e32 v2, v3, v4, vcc
	v_mul_lo_u32 v3, v9, s2
	v_xor_b32_e32 v2, v2, v1
	v_sub_u32_e32 v5, v2, v1
	v_ashrrev_i32_e32 v1, 31, v7
	v_sub_u32_e32 v2, v8, v3
	v_cmp_le_u32_e32 vcc, s2, v2
	v_subrev_u32_e32 v4, s2, v2
	v_cndmask_b32_e32 v2, v2, v4, vcc
	v_sub_u32_e32 v4, 0, v0
	v_max_i32_e32 v4, v0, v4
	s_waitcnt vmcnt(6)
	v_mul_hi_u32 v8, v4, v21
	v_add_u32_e32 v3, 1, v9
	v_cndmask_b32_e32 v3, v9, v3, vcc
	v_add_u32_e32 v9, 1, v3
	v_cmp_le_u32_e32 vcc, s2, v2
	v_cndmask_b32_e32 v2, v3, v9, vcc
	v_mul_lo_u32 v3, v8, s33
	v_xor_b32_e32 v1, s3, v1
	v_xor_b32_e32 v2, v2, v1
	v_sub_u32_e32 v1, v2, v1
	v_sub_u32_e32 v3, v4, v3
	v_add_u32_e32 v4, 1, v8
	v_cmp_le_u32_e32 vcc, s33, v3
	v_cndmask_b32_e32 v4, v8, v4, vcc
	v_subrev_u32_e32 v8, s33, v3
	v_cndmask_b32_e32 v3, v3, v8, vcc
	v_sub_u32_e32 v8, 0, v10
	v_max_i32_e32 v8, v10, v8
	v_mul_hi_u32 v9, v8, v12
	v_add_u32_e32 v11, 1, v4
	v_cmp_le_u32_e32 vcc, s33, v3
	v_cndmask_b32_e32 v3, v4, v11, vcc
	v_mul_lo_u32 v11, v9, s2
	v_ashrrev_i32_e32 v2, 31, v0
	v_xor_b32_e32 v2, s6, v2
	v_xor_b32_e32 v3, v3, v2
	v_sub_u32_e32 v4, v3, v2
	v_sub_u32_e32 v2, v8, v11
	v_cmp_le_u32_e32 vcc, s2, v2
	v_subrev_u32_e32 v8, s2, v2
	v_subrev_u32_e32 v11, s59, v7
	v_add_u32_e32 v3, 1, v9
	v_cndmask_b32_e32 v2, v2, v8, vcc
	v_sub_u32_e32 v8, 0, v11
	v_cndmask_b32_e32 v3, v9, v3, vcc
	v_max_i32_e32 v9, v11, v8
	v_mul_hi_u32 v12, v9, v12
	v_add_u32_e32 v8, 1, v3
	v_cmp_le_u32_e32 vcc, s2, v2
	v_cndmask_b32_e32 v2, v3, v8, vcc
	v_mul_lo_u32 v14, v12, s2
	v_xor_b32_e32 v2, v2, v13
	v_sub_u32_e32 v8, v2, v13
	v_add_u32_e32 v3, 1, v12
	v_sub_u32_e32 v2, v9, v14
	v_cmp_le_u32_e32 vcc, s2, v2
	v_subrev_u32_e32 v13, s0, v6
	v_cndmask_b32_e32 v3, v12, v3, vcc
	v_sub_u32_e32 v12, 0, v13
	v_max_i32_e32 v12, v13, v12
	v_mul_hi_u32 v14, v12, v17
	v_subrev_u32_e32 v9, s2, v2
	v_cndmask_b32_e32 v2, v2, v9, vcc
	v_add_u32_e32 v9, 1, v3
	v_cmp_le_u32_e32 vcc, s2, v2
	v_mul_lo_u32 v15, v14, s1
	v_cndmask_b32_e32 v2, v3, v9, vcc
	v_ashrrev_i32_e32 v3, 31, v11
	v_xor_b32_e32 v3, s3, v3
	v_xor_b32_e32 v2, v2, v3
	v_sub_u32_e32 v9, v2, v3
	v_sub_u32_e32 v2, v12, v15
	;; [unrolled: 1-line block ×3, first 2 shown]
	v_max_i32_e32 v12, v16, v12
	v_mul_hi_u32 v15, v12, v17
	v_add_u32_e32 v3, 1, v14
	v_cmp_le_u32_e32 vcc, s1, v2
	v_cndmask_b32_e32 v3, v14, v3, vcc
	v_subrev_u32_e32 v14, s1, v2
	v_cndmask_b32_e32 v2, v2, v14, vcc
	v_mul_lo_u32 v14, v15, s1
	v_add_u32_e32 v17, 1, v3
	v_cmp_le_u32_e32 vcc, s1, v2
	v_cndmask_b32_e32 v19, v3, v17, vcc
	v_sub_u32_e32 v2, v12, v14
	v_add_u32_e32 v3, 1, v15
	v_cmp_le_u32_e32 vcc, s1, v2
	v_subrev_u32_e32 v12, s1, v2
	v_cndmask_b32_e32 v3, v15, v3, vcc
	v_cndmask_b32_e32 v2, v2, v12, vcc
	v_readlane_b32 s0, v62, 25
	v_add_u32_e32 v12, 1, v3
	v_cmp_le_u32_e32 vcc, s1, v2
	v_subrev_u32_e32 v17, s0, v0
	v_cndmask_b32_e32 v2, v3, v12, vcc
	v_sub_u32_e32 v12, 0, v17
	v_max_i32_e32 v12, v17, v12
	v_mul_hi_u32 v15, v12, v21
	v_ashrrev_i32_e32 v3, 31, v16
	v_xor_b32_e32 v3, s50, v3
	v_xor_b32_e32 v2, v2, v3
	v_sub_u32_e32 v14, v2, v3
	v_mul_lo_u32 v2, v15, s33
	v_or_b32_e32 v20, v4, v1
	v_or_b32_e32 v3, v20, v5
	v_cmp_lt_i32_e32 vcc, -1, v3
	v_sub_u32_e32 v2, v12, v2
	v_add_u32_e32 v3, 1, v15
	v_cmp_le_u32_e64 s[2:3], s33, v2
	v_subrev_u32_e32 v12, s33, v2
	v_cndmask_b32_e64 v3, v15, v3, s[2:3]
	v_cndmask_b32_e64 v2, v2, v12, s[2:3]
	v_readlane_b32 s0, v62, 26
	v_add_u32_e32 v12, 1, v3
	v_cmp_le_u32_e64 s[2:3], s33, v2
	v_subrev_u32_e32 v18, s0, v0
	v_cndmask_b32_e64 v2, v3, v12, s[2:3]
	v_sub_u32_e32 v12, 0, v18
	v_max_i32_e32 v15, v18, v12
	v_mul_hi_u32 v22, v15, v21
	v_ashrrev_i32_e32 v3, 31, v17
	v_xor_b32_e32 v3, s6, v3
	v_xor_b32_e32 v2, v2, v3
	v_sub_u32_e32 v12, v2, v3
	v_mul_lo_u32 v2, v22, s33
	v_or_b32_e32 v21, v12, v1
	v_or_b32_e32 v3, v21, v5
	v_cmp_lt_i32_e64 s[2:3], -1, v3
	v_sub_u32_e32 v2, v15, v2
	v_add_u32_e32 v3, 1, v22
	v_cmp_le_u32_e64 s[4:5], s33, v2
	v_subrev_u32_e32 v15, s33, v2
	v_cndmask_b32_e64 v3, v22, v3, s[4:5]
	v_cndmask_b32_e64 v2, v2, v15, s[4:5]
	v_add_u32_e32 v15, 1, v3
	v_cmp_le_u32_e64 s[4:5], s33, v2
	v_cndmask_b32_e64 v2, v3, v15, s[4:5]
	v_ashrrev_i32_e32 v3, 31, v18
	v_xor_b32_e32 v3, s6, v3
	v_xor_b32_e32 v2, v2, v3
	v_sub_u32_e32 v15, v2, v3
	v_cmp_gt_i32_e64 s[26:27], s70, v1
	v_cmp_gt_i32_e64 s[28:29], s71, v4
	;; [unrolled: 1-line block ×4, first 2 shown]
	s_and_b64 s[48:49], s[28:29], s[26:27]
	s_and_b64 s[46:47], s[30:31], s[26:27]
	s_and_b64 s[44:45], s[34:35], s[26:27]
	v_cmp_gt_i32_e64 s[26:27], s70, v9
	s_and_b64 s[42:43], s[28:29], s[26:27]
	s_and_b64 s[40:41], s[30:31], s[26:27]
	s_and_b64 s[38:39], s[34:35], s[26:27]
	v_cmp_gt_i32_e64 s[26:27], s70, v8
	;; [unrolled: 4-line block ×3, first 2 shown]
	s_and_b64 s[30:31], s[48:49], vcc
	s_and_b64 s[30:31], s[30:31], s[26:27]
	v_or_b32_e32 v24, v15, v1
	v_writelane_b32 v62, s30, 56
	s_and_b64 s[2:3], s[46:47], s[2:3]
	v_or_b32_e32 v2, v24, v5
	v_writelane_b32 v62, s31, 57
	s_and_b64 s[2:3], s[2:3], s[26:27]
	v_cmp_lt_i32_e64 s[4:5], -1, v2
	v_writelane_b32 v62, s2, 58
	v_or_b32_e32 v23, v4, v9
	v_writelane_b32 v62, s3, 59
	s_and_b64 s[2:3], s[44:45], s[4:5]
	v_or_b32_e32 v2, v23, v5
	s_and_b64 s[2:3], s[2:3], s[26:27]
	v_cmp_lt_i32_e64 s[6:7], -1, v2
	v_writelane_b32 v62, s2, 60
	v_or_b32_e32 v27, v12, v9
	v_writelane_b32 v62, s3, 61
	s_and_b64 s[2:3], s[42:43], s[6:7]
	v_or_b32_e32 v2, v27, v5
	s_and_b64 s[2:3], s[2:3], s[26:27]
	v_cmp_lt_i32_e64 s[8:9], -1, v2
	v_writelane_b32 v62, s2, 62
	v_or_b32_e32 v28, v15, v9
	v_writelane_b32 v62, s3, 63
	s_and_b64 s[2:3], s[40:41], s[8:9]
	v_or_b32_e32 v2, v28, v5
	s_and_b64 s[2:3], s[2:3], s[26:27]
	v_cmp_lt_i32_e64 s[10:11], -1, v2
	v_writelane_b32 v63, s2, 0
	v_or_b32_e32 v22, v4, v8
	v_writelane_b32 v63, s3, 1
	s_and_b64 s[2:3], s[38:39], s[10:11]
	v_or_b32_e32 v2, v22, v5
	s_and_b64 s[2:3], s[2:3], s[26:27]
	v_cmp_lt_i32_e64 s[16:17], -1, v2
	v_writelane_b32 v63, s2, 2
	v_or_b32_e32 v25, v12, v8
	v_writelane_b32 v63, s3, 3
	s_and_b64 s[2:3], s[36:37], s[16:17]
	v_or_b32_e32 v2, v25, v5
	s_and_b64 s[2:3], s[2:3], s[26:27]
	v_cmp_lt_i32_e64 s[20:21], -1, v2
	v_writelane_b32 v63, s2, 4
	v_or_b32_e32 v26, v15, v8
	v_writelane_b32 v63, s3, 5
	s_and_b64 s[2:3], s[28:29], s[20:21]
	v_or_b32_e32 v2, v26, v5
	s_and_b64 s[2:3], s[2:3], s[26:27]
	v_cmp_lt_i32_e64 s[22:23], -1, v2
	v_or_b32_e32 v2, v20, v14
	v_writelane_b32 v63, s2, 6
	v_readlane_b32 s68, v62, 17
	v_cmp_lt_i32_e64 s[12:13], -1, v2
	v_or_b32_e32 v2, v21, v14
	v_writelane_b32 v63, s3, 7
	s_and_b64 s[2:3], s[0:1], s[22:23]
	v_mul_lo_u32 v61, v51, s68
	v_cmp_lt_i32_e64 s[14:15], -1, v2
	v_or_b32_e32 v2, v24, v14
	s_and_b64 s[2:3], s[2:3], s[26:27]
	v_cmp_lt_i32_e64 s[18:19], -1, v2
	v_or_b32_e32 v2, v23, v14
	v_writelane_b32 v63, s2, 8
	v_cmp_lt_i32_e64 s[24:25], -1, v2
	v_writelane_b32 v63, s3, 9
	v_or_b32_e32 v2, v27, v14
	v_readlane_b32 s2, v62, 14
	v_cmp_lt_i32_e32 vcc, -1, v2
	v_mul_lo_u32 v2, s2, v61
	v_cmp_gt_i32_e64 s[6:7], s69, v14
	s_and_b64 s[8:9], s[48:49], s[12:13]
	v_or_b32_e32 v3, v28, v14
	s_and_b64 s[8:9], s[8:9], s[6:7]
	v_cmp_lt_i32_e64 s[2:3], -1, v3
	v_or_b32_e32 v3, v22, v14
	v_writelane_b32 v63, s8, 10
	v_cmp_lt_i32_e64 s[4:5], -1, v3
	v_ashrrev_i32_e32 v3, 31, v2
	v_writelane_b32 v63, s9, 11
	s_and_b64 s[8:9], s[46:47], s[14:15]
	v_readlane_b32 s10, v62, 18
	v_lshlrev_b64 v[2:3], 3, v[2:3]
	s_and_b64 s[76:77], s[8:9], s[6:7]
	s_and_b64 s[8:9], s[44:45], s[18:19]
	v_readlane_b32 s11, v62, 19
	s_and_b64 s[78:79], s[8:9], s[6:7]
	s_and_b64 s[8:9], s[42:43], s[24:25]
	v_mov_b32_e32 v29, s11
	s_and_b64 s[90:91], s[8:9], s[6:7]
	s_and_b64 s[8:9], s[40:41], vcc
	v_add_co_u32_e32 v2, vcc, s10, v2
	v_addc_co_u32_e32 v3, vcc, v29, v3, vcc
	v_ashrrev_i32_e32 v29, 31, v13
	v_xor_b32_e32 v29, s50, v29
	v_or_b32_e32 v30, v25, v14
	s_and_b64 s[2:3], s[38:39], s[2:3]
	v_xor_b32_e32 v19, v19, v29
	v_or_b32_e32 v31, v26, v14
	s_and_b64 s[62:63], s[2:3], s[6:7]
	s_and_b64 s[2:3], s[36:37], s[4:5]
	v_cmp_lt_i32_e32 vcc, -1, v30
	v_sub_u32_e32 v19, v19, v29
	s_and_b64 s[64:65], s[2:3], s[6:7]
	s_and_b64 s[2:3], s[28:29], vcc
	v_cmp_lt_i32_e32 vcc, -1, v31
	v_or_b32_e32 v20, v20, v19
	s_and_b64 s[66:67], s[2:3], s[6:7]
	s_and_b64 s[2:3], s[0:1], vcc
	v_cmp_lt_i32_e32 vcc, -1, v20
	v_or_b32_e32 v20, v21, v19
	;; [unrolled: 4-line block ×3, first 2 shown]
	s_and_b64 s[10:11], s[46:47], vcc
	v_cmp_lt_i32_e32 vcc, -1, v20
	v_or_b32_e32 v20, v23, v19
	s_and_b64 s[12:13], s[44:45], vcc
	v_cmp_lt_i32_e32 vcc, -1, v20
	v_or_b32_e32 v20, v27, v19
	;; [unrolled: 3-line block ×3, first 2 shown]
	s_and_b64 s[16:17], s[40:41], vcc
	v_cmp_lt_i32_e32 vcc, -1, v20
	v_mul_lo_u32 v20, v5, s52
	v_mul_lo_u32 v21, v1, s53
	;; [unrolled: 1-line block ×5, first 2 shown]
	s_and_b64 s[18:19], s[38:39], vcc
	v_cmp_eq_u32_e32 vcc, v20, v6
	v_mul_lo_u32 v6, v19, s52
	s_and_b64 s[72:73], s[2:3], s[6:7]
	v_cmp_eq_u32_e64 s[2:3], v21, v7
	v_cmp_eq_u32_e64 s[4:5], v23, v11
	v_cmp_eq_u32_e64 s[6:7], v24, v10
	s_and_b64 s[20:21], vcc, s[2:3]
	s_and_b64 s[22:23], vcc, s[4:5]
	;; [unrolled: 1-line block ×3, first 2 shown]
	v_cmp_eq_u32_e32 vcc, v27, v16
	s_and_b64 s[26:27], vcc, s[2:3]
	s_and_b64 s[30:31], vcc, s[4:5]
	;; [unrolled: 1-line block ×3, first 2 shown]
	v_cmp_eq_u32_e32 vcc, v6, v13
	v_or_b32_e32 v6, v22, v19
	s_and_b64 s[44:45], vcc, s[2:3]
	s_and_b64 s[50:51], vcc, s[4:5]
	;; [unrolled: 1-line block ×3, first 2 shown]
	v_cmp_lt_i32_e32 vcc, -1, v6
	v_or_b32_e32 v6, v25, v19
	s_and_b64 s[2:3], s[36:37], vcc
	v_cmp_lt_i32_e32 vcc, -1, v6
	v_or_b32_e32 v6, v26, v19
	s_and_b64 s[4:5], s[28:29], vcc
	v_cmp_lt_i32_e32 vcc, -1, v6
	v_mul_lo_u32 v6, v4, s54
	s_and_b64 s[6:7], s[0:1], vcc
	v_cmp_gt_i32_e32 vcc, s69, v19
	s_and_b64 s[74:75], s[8:9], vcc
	s_and_b64 s[84:85], s[10:11], vcc
	;; [unrolled: 1-line block ×9, first 2 shown]
	v_cmp_eq_u32_e32 vcc, v6, v0
	v_mul_lo_u32 v0, v5, s70
	v_mul_lo_u32 v7, v12, s54
	;; [unrolled: 1-line block ×4, first 2 shown]
	v_add_u32_e32 v5, v1, v0
	v_cmp_eq_u32_e64 s[54:55], v7, v17
	v_mul_lo_u32 v7, v5, s71
	v_add_u32_e32 v11, v9, v0
	v_add_u32_e32 v0, v8, v0
	v_cmp_eq_u32_e64 s[56:57], v10, v18
	v_add_u32_e32 v5, v4, v7
	v_add_u32_e32 v10, v12, v7
	v_mul_lo_u32 v13, v11, s71
	v_add_u32_e32 v16, v15, v7
	v_mul_lo_u32 v0, v0, s71
	v_mul_lo_u32 v7, v14, s70
	v_add_u32_e32 v20, v4, v13
	v_add_u32_e32 v22, v12, v13
	;; [unrolled: 1-line block ×9, first 2 shown]
	v_mul_lo_u32 v18, v18, s71
	v_mul_lo_u32 v0, v0, s71
	;; [unrolled: 1-line block ×3, first 2 shown]
	v_add_u32_e32 v1, v1, v48
	v_add_u32_e32 v30, v4, v18
	;; [unrolled: 1-line block ×12, first 2 shown]
	v_mul_lo_u32 v49, v1, s71
	v_mul_lo_u32 v9, v7, s71
	;; [unrolled: 1-line block ×3, first 2 shown]
	v_ashrrev_i32_e32 v6, 31, v5
	v_add_u32_e32 v44, v4, v49
	v_add_u32_e32 v48, v4, v9
	v_add_u32_e32 v54, v4, v58
	v_lshlrev_b64 v[4:5], 3, v[5:6]
	v_ashrrev_i32_e32 v11, 31, v10
	buffer_store_dword v4, off, s[96:99], 0 offset:240 ; 4-byte Folded Spill
	s_nop 0
	buffer_store_dword v5, off, s[96:99], 0 offset:244 ; 4-byte Folded Spill
	v_lshlrev_b64 v[4:5], 3, v[10:11]
	v_ashrrev_i32_e32 v17, 31, v16
	buffer_store_dword v4, off, s[96:99], 0 offset:248 ; 4-byte Folded Spill
	s_nop 0
	buffer_store_dword v5, off, s[96:99], 0 offset:252 ; 4-byte Folded Spill
	;; [unrolled: 5-line block ×14, first 2 shown]
	v_lshlrev_b64 v[4:5], 3, v[40:41]
	v_ashrrev_i32_e32 v19, 31, v18
	v_ashrrev_i32_e32 v1, 31, v0
	buffer_store_dword v4, off, s[96:99], 0 offset:352 ; 4-byte Folded Spill
	s_nop 0
	buffer_store_dword v5, off, s[96:99], 0 offset:356 ; 4-byte Folded Spill
	v_lshlrev_b64 v[4:5], 3, v[18:19]
	v_lshlrev_b64 v[0:1], 3, v[0:1]
	v_ashrrev_i32_e32 v43, 31, v42
	buffer_store_dword v4, off, s[96:99], 0 offset:360 ; 4-byte Folded Spill
	s_nop 0
	buffer_store_dword v5, off, s[96:99], 0 offset:364 ; 4-byte Folded Spill
	buffer_store_dword v0, off, s[96:99], 0 offset:368 ; 4-byte Folded Spill
	s_nop 0
	buffer_store_dword v1, off, s[96:99], 0 offset:372 ; 4-byte Folded Spill
	v_lshlrev_b64 v[0:1], 3, v[42:43]
	v_ashrrev_i32_e32 v45, 31, v44
	buffer_store_dword v0, off, s[96:99], 0 offset:376 ; 4-byte Folded Spill
	s_nop 0
	buffer_store_dword v1, off, s[96:99], 0 offset:380 ; 4-byte Folded Spill
	v_lshlrev_b64 v[0:1], 3, v[44:45]
	v_add_u32_e32 v46, v12, v49
	v_ashrrev_i32_e32 v47, 31, v46
	buffer_store_dword v0, off, s[96:99], 0 offset:384 ; 4-byte Folded Spill
	s_nop 0
	buffer_store_dword v1, off, s[96:99], 0 offset:388 ; 4-byte Folded Spill
	v_lshlrev_b64 v[0:1], 3, v[46:47]
	v_add_u32_e32 v7, v15, v49
	v_ashrrev_i32_e32 v8, 31, v7
	buffer_store_dword v0, off, s[96:99], 0 offset:392 ; 4-byte Folded Spill
	s_nop 0
	buffer_store_dword v1, off, s[96:99], 0 offset:396 ; 4-byte Folded Spill
	v_lshlrev_b64 v[0:1], 3, v[7:8]
	v_ashrrev_i32_e32 v49, 31, v48
	buffer_store_dword v0, off, s[96:99], 0 offset:400 ; 4-byte Folded Spill
	s_nop 0
	buffer_store_dword v1, off, s[96:99], 0 offset:404 ; 4-byte Folded Spill
	v_lshlrev_b64 v[0:1], 3, v[48:49]
	v_add_u32_e32 v50, v12, v9
	v_ashrrev_i32_e32 v51, 31, v50
	buffer_store_dword v0, off, s[96:99], 0 offset:408 ; 4-byte Folded Spill
	s_nop 0
	buffer_store_dword v1, off, s[96:99], 0 offset:412 ; 4-byte Folded Spill
	v_lshlrev_b64 v[0:1], 3, v[50:51]
	v_add_u32_e32 v52, v15, v9
	v_ashrrev_i32_e32 v53, 31, v52
	buffer_store_dword v0, off, s[96:99], 0 offset:416 ; 4-byte Folded Spill
	s_nop 0
	buffer_store_dword v1, off, s[96:99], 0 offset:420 ; 4-byte Folded Spill
	v_lshlrev_b64 v[0:1], 3, v[52:53]
	v_ashrrev_i32_e32 v55, 31, v54
	buffer_store_dword v0, off, s[96:99], 0 offset:424 ; 4-byte Folded Spill
	s_nop 0
	buffer_store_dword v1, off, s[96:99], 0 offset:428 ; 4-byte Folded Spill
	v_lshlrev_b64 v[0:1], 3, v[54:55]
	v_add_u32_e32 v56, v12, v58
	v_ashrrev_i32_e32 v57, 31, v56
	buffer_store_dword v0, off, s[96:99], 0 offset:432 ; 4-byte Folded Spill
	s_nop 0
	buffer_store_dword v1, off, s[96:99], 0 offset:436 ; 4-byte Folded Spill
	v_readlane_b32 s70, v62, 52
	v_lshlrev_b64 v[0:1], 3, v[56:57]
	v_readlane_b32 s71, v62, 53
	v_add_u32_e32 v58, v15, v58
	v_mov_b32_e32 v22, v61
	v_ashrrev_i32_e32 v59, 31, v58
	buffer_store_dword v0, off, s[96:99], 0 offset:440 ; 4-byte Folded Spill
	s_nop 0
	buffer_store_dword v1, off, s[96:99], 0 offset:444 ; 4-byte Folded Spill
	v_add_u32_e32 v23, s68, v22
	s_mul_i32 s68, s71, s68
	v_lshlrev_b64 v[0:1], 3, v[58:59]
	v_mul_lo_u32 v58, s68, v60
	buffer_store_dword v0, off, s[96:99], 0 offset:448 ; 4-byte Folded Spill
	s_nop 0
	buffer_store_dword v1, off, s[96:99], 0 offset:452 ; 4-byte Folded Spill
	buffer_store_dword v60, off, s[96:99], 0 offset:476 ; 4-byte Folded Spill
	v_mov_b32_e32 v60, 0
	s_and_b64 s[2:3], s[20:21], vcc
	s_and_b64 s[4:5], s[20:21], s[54:55]
	s_and_b64 s[6:7], s[20:21], s[56:57]
	s_and_b64 s[8:9], s[22:23], vcc
	s_and_b64 s[10:11], s[22:23], s[54:55]
	s_and_b64 s[12:13], s[22:23], s[56:57]
	;; [unrolled: 3-line block ×9, first 2 shown]
	s_mov_b64 s[58:59], 0
	v_mov_b32_e32 v61, 0
	s_branch .LBB15_5
.LBB15_4:                               ;   in Loop: Header=BB15_5 Depth=2
	s_or_b64 exec, exec, s[68:69]
	buffer_load_dword v42, off, s[96:99], 0 offset:80 ; 4-byte Folded Reload
	buffer_load_dword v43, off, s[96:99], 0 offset:84 ; 4-byte Folded Reload
	buffer_load_dword v48, off, s[96:99], 0 ; 4-byte Folded Reload
	buffer_load_dword v49, off, s[96:99], 0 offset:4 ; 4-byte Folded Reload
	v_add_co_u32_e32 v2, vcc, 0xd8, v2
	v_add_u32_e32 v22, 1, v22
	v_addc_co_u32_e32 v3, vcc, 0, v3, vcc
	v_cmp_ge_i32_e32 vcc, v22, v23
	s_or_b64 s[58:59], vcc, s[58:59]
	v_add_u32_e32 v58, s71, v58
	s_waitcnt vmcnt(0)
	v_fma_f64 v[42:43], v[42:43], v[48:49], v[60:61]
	buffer_load_dword v48, off, s[96:99], 0 offset:88 ; 4-byte Folded Reload
	buffer_load_dword v49, off, s[96:99], 0 offset:92 ; 4-byte Folded Reload
	v_cndmask_b32_e64 v43, v61, v43, s[2:3]
	v_cndmask_b32_e64 v42, v60, v42, s[2:3]
	s_waitcnt vmcnt(0)
	v_fma_f64 v[59:60], v[48:49], v[28:29], v[42:43]
	buffer_load_dword v28, off, s[96:99], 0 offset:96 ; 4-byte Folded Reload
	buffer_load_dword v29, off, s[96:99], 0 offset:100 ; 4-byte Folded Reload
	v_cndmask_b32_e64 v43, v43, v60, s[4:5]
	v_cndmask_b32_e64 v42, v42, v59, s[4:5]
	;; [unrolled: 6-line block ×4, first 2 shown]
	s_waitcnt vmcnt(0)
	v_fma_f64 v[59:60], v[28:29], v[8:9], v[42:43]
	buffer_load_dword v8, off, s[96:99], 0 offset:120 ; 4-byte Folded Reload
	buffer_load_dword v9, off, s[96:99], 0 offset:124 ; 4-byte Folded Reload
	buffer_load_dword v28, off, s[96:99], 0 offset:16 ; 4-byte Folded Reload
	buffer_load_dword v29, off, s[96:99], 0 offset:20 ; 4-byte Folded Reload
	v_cndmask_b32_e64 v43, v43, v60, s[10:11]
	v_cndmask_b32_e64 v42, v42, v59, s[10:11]
	s_waitcnt vmcnt(0)
	v_fma_f64 v[59:60], v[8:9], v[28:29], v[42:43]
	buffer_load_dword v8, off, s[96:99], 0 offset:8 ; 4-byte Folded Reload
	buffer_load_dword v9, off, s[96:99], 0 offset:12 ; 4-byte Folded Reload
	buffer_load_dword v28, off, s[96:99], 0 offset:128 ; 4-byte Folded Reload
	buffer_load_dword v29, off, s[96:99], 0 offset:132 ; 4-byte Folded Reload
	v_cndmask_b32_e64 v43, v43, v60, s[12:13]
	v_cndmask_b32_e64 v42, v42, v59, s[12:13]
	;; [unrolled: 8-line block ×8, first 2 shown]
	s_waitcnt vmcnt(0)
	v_fma_f64 v[48:49], v[28:29], v[8:9], v[42:43]
	buffer_load_dword v8, off, s[96:99], 0 offset:184 ; 4-byte Folded Reload
	buffer_load_dword v9, off, s[96:99], 0 offset:188 ; 4-byte Folded Reload
	v_cndmask_b32_e64 v43, v43, v49, s[26:27]
	v_cndmask_b32_e64 v42, v42, v48, s[26:27]
	s_waitcnt vmcnt(0)
	v_fma_f64 v[0:1], v[8:9], v[0:1], v[42:43]
	buffer_load_dword v8, off, s[96:99], 0 offset:72 ; 4-byte Folded Reload
	buffer_load_dword v9, off, s[96:99], 0 offset:76 ; 4-byte Folded Reload
	;; [unrolled: 1-line block ×4, first 2 shown]
	v_cndmask_b32_e64 v1, v43, v1, s[28:29]
	v_cndmask_b32_e64 v0, v42, v0, s[28:29]
	s_waitcnt vmcnt(0)
	v_fma_f64 v[42:43], v[28:29], v[8:9], v[0:1]
	buffer_load_dword v8, off, s[96:99], 0 offset:200 ; 4-byte Folded Reload
	buffer_load_dword v9, off, s[96:99], 0 offset:204 ; 4-byte Folded Reload
	v_cndmask_b32_e64 v1, v1, v43, s[30:31]
	v_cndmask_b32_e64 v0, v0, v42, s[30:31]
	s_waitcnt vmcnt(0)
	v_fma_f64 v[20:21], v[8:9], v[20:21], v[0:1]
	buffer_load_dword v8, off, s[96:99], 0 offset:208 ; 4-byte Folded Reload
	buffer_load_dword v9, off, s[96:99], 0 offset:212 ; 4-byte Folded Reload
	;; [unrolled: 6-line block ×3, first 2 shown]
	v_cndmask_b32_e64 v1, v1, v15, s[36:37]
	v_cndmask_b32_e64 v0, v0, v14, s[36:37]
	s_waitcnt vmcnt(0)
	v_fma_f64 v[4:5], v[8:9], v[4:5], v[0:1]
	v_cndmask_b32_e64 v1, v1, v5, s[38:39]
	v_cndmask_b32_e64 v0, v0, v4, s[38:39]
	buffer_load_dword v4, off, s[96:99], 0 offset:224 ; 4-byte Folded Reload
	buffer_load_dword v5, off, s[96:99], 0 offset:228 ; 4-byte Folded Reload
	s_waitcnt vmcnt(0)
	v_fma_f64 v[4:5], v[4:5], v[30:31], v[0:1]
	v_cndmask_b32_e64 v1, v1, v5, s[40:41]
	v_cndmask_b32_e64 v0, v0, v4, s[40:41]
	v_fma_f64 v[4:5], v[36:37], v[38:39], v[0:1]
	v_cndmask_b32_e64 v1, v1, v5, s[42:43]
	v_cndmask_b32_e64 v0, v0, v4, s[42:43]
	;; [unrolled: 3-line block ×9, first 2 shown]
	s_andn2_b64 exec, exec, s[58:59]
	s_cbranch_execz .LBB15_59
.LBB15_5:                               ;   Parent Loop BB15_2 Depth=1
                                        ; =>  This Inner Loop Header: Depth=2
	buffer_load_dword v4, off, s[96:99], 0 offset:232 ; 4-byte Folded Reload
	v_ashrrev_i32_e32 v59, 31, v58
	v_lshlrev_b64 v[0:1], 3, v[58:59]
	s_waitcnt vmcnt(0)
	v_add_co_u32_e32 v59, vcc, v4, v0
	buffer_load_dword v0, off, s[96:99], 0 offset:236 ; 4-byte Folded Reload
	s_waitcnt vmcnt(0)
	v_addc_co_u32_e32 v42, vcc, v0, v1, vcc
	global_load_dwordx2 v[0:1], v[2:3], off
	s_waitcnt vmcnt(0)
	buffer_store_dword v0, off, s[96:99], 0 offset:80 ; 4-byte Folded Spill
	s_nop 0
	buffer_store_dword v1, off, s[96:99], 0 offset:84 ; 4-byte Folded Spill
	v_mov_b32_e32 v0, 0
	v_mov_b32_e32 v1, 0
	buffer_store_dword v0, off, s[96:99], 0 ; 4-byte Folded Spill
	s_nop 0
	buffer_store_dword v1, off, s[96:99], 0 offset:4 ; 4-byte Folded Spill
	s_mov_b64 s[68:69], exec
	v_readlane_b32 vcc_lo, v62, 56
	v_readlane_b32 vcc_hi, v62, 57
	s_and_b64 vcc, s[68:69], vcc
	s_mov_b64 exec, vcc
	s_cbranch_execz .LBB15_7
; %bb.6:                                ;   in Loop: Header=BB15_5 Depth=2
	buffer_load_dword v0, off, s[96:99], 0 offset:240 ; 4-byte Folded Reload
	buffer_load_dword v1, off, s[96:99], 0 offset:244 ; 4-byte Folded Reload
	s_waitcnt vmcnt(1)
	v_add_co_u32_e32 v0, vcc, v59, v0
	s_waitcnt vmcnt(0)
	v_addc_co_u32_e32 v1, vcc, v42, v1, vcc
	global_load_dwordx2 v[0:1], v[0:1], off
	s_waitcnt vmcnt(0)
	buffer_store_dword v0, off, s[96:99], 0 ; 4-byte Folded Spill
	s_nop 0
	buffer_store_dword v1, off, s[96:99], 0 offset:4 ; 4-byte Folded Spill
.LBB15_7:                               ;   in Loop: Header=BB15_5 Depth=2
	s_or_b64 exec, exec, s[68:69]
	global_load_dwordx2 v[0:1], v[2:3], off offset:8
	v_mov_b32_e32 v40, 0
	v_mov_b32_e32 v28, 0
	;; [unrolled: 1-line block ×4, first 2 shown]
	s_waitcnt vmcnt(0)
	buffer_store_dword v0, off, s[96:99], 0 offset:88 ; 4-byte Folded Spill
	s_nop 0
	buffer_store_dword v1, off, s[96:99], 0 offset:92 ; 4-byte Folded Spill
	s_mov_b64 s[68:69], exec
	v_readlane_b32 vcc_lo, v62, 58
	v_readlane_b32 vcc_hi, v62, 59
	s_and_b64 vcc, s[68:69], vcc
	s_mov_b64 exec, vcc
	s_cbranch_execz .LBB15_9
; %bb.8:                                ;   in Loop: Header=BB15_5 Depth=2
	buffer_load_dword v0, off, s[96:99], 0 offset:248 ; 4-byte Folded Reload
	buffer_load_dword v1, off, s[96:99], 0 offset:252 ; 4-byte Folded Reload
	s_waitcnt vmcnt(1)
	v_add_co_u32_e32 v0, vcc, v59, v0
	s_waitcnt vmcnt(0)
	v_addc_co_u32_e32 v1, vcc, v42, v1, vcc
	global_load_dwordx2 v[28:29], v[0:1], off
.LBB15_9:                               ;   in Loop: Header=BB15_5 Depth=2
	s_or_b64 exec, exec, s[68:69]
	global_load_dwordx2 v[0:1], v[2:3], off offset:16
	s_waitcnt vmcnt(0)
	buffer_store_dword v0, off, s[96:99], 0 offset:96 ; 4-byte Folded Spill
	s_nop 0
	buffer_store_dword v1, off, s[96:99], 0 offset:100 ; 4-byte Folded Spill
	s_mov_b64 s[68:69], exec
	v_readlane_b32 vcc_lo, v62, 60
	v_readlane_b32 vcc_hi, v62, 61
	s_and_b64 vcc, s[68:69], vcc
	s_mov_b64 exec, vcc
	s_cbranch_execz .LBB15_11
; %bb.10:                               ;   in Loop: Header=BB15_5 Depth=2
	buffer_load_dword v0, off, s[96:99], 0 offset:256 ; 4-byte Folded Reload
	buffer_load_dword v1, off, s[96:99], 0 offset:260 ; 4-byte Folded Reload
	s_waitcnt vmcnt(1)
	v_add_co_u32_e32 v0, vcc, v59, v0
	s_waitcnt vmcnt(0)
	v_addc_co_u32_e32 v1, vcc, v42, v1, vcc
	global_load_dwordx2 v[40:41], v[0:1], off
.LBB15_11:                              ;   in Loop: Header=BB15_5 Depth=2
	s_or_b64 exec, exec, s[68:69]
	global_load_dwordx2 v[0:1], v[2:3], off offset:24
	v_mov_b32_e32 v8, 0
	v_mov_b32_e32 v50, 0
	;; [unrolled: 1-line block ×4, first 2 shown]
	s_waitcnt vmcnt(0)
	buffer_store_dword v0, off, s[96:99], 0 offset:104 ; 4-byte Folded Spill
	s_nop 0
	buffer_store_dword v1, off, s[96:99], 0 offset:108 ; 4-byte Folded Spill
	s_mov_b64 s[68:69], exec
	v_readlane_b32 vcc_lo, v62, 62
	v_readlane_b32 vcc_hi, v62, 63
	s_and_b64 vcc, s[68:69], vcc
	s_mov_b64 exec, vcc
	s_cbranch_execz .LBB15_13
; %bb.12:                               ;   in Loop: Header=BB15_5 Depth=2
	buffer_load_dword v0, off, s[96:99], 0 offset:264 ; 4-byte Folded Reload
	buffer_load_dword v1, off, s[96:99], 0 offset:268 ; 4-byte Folded Reload
	s_waitcnt vmcnt(1)
	v_add_co_u32_e32 v0, vcc, v59, v0
	s_waitcnt vmcnt(0)
	v_addc_co_u32_e32 v1, vcc, v42, v1, vcc
	global_load_dwordx2 v[50:51], v[0:1], off
.LBB15_13:                              ;   in Loop: Header=BB15_5 Depth=2
	s_or_b64 exec, exec, s[68:69]
	global_load_dwordx2 v[0:1], v[2:3], off offset:32
	s_waitcnt vmcnt(0)
	buffer_store_dword v0, off, s[96:99], 0 offset:112 ; 4-byte Folded Spill
	s_nop 0
	buffer_store_dword v1, off, s[96:99], 0 offset:116 ; 4-byte Folded Spill
	s_mov_b64 s[68:69], exec
	v_readlane_b32 vcc_lo, v63, 0
	v_readlane_b32 vcc_hi, v63, 1
	s_and_b64 vcc, s[68:69], vcc
	s_mov_b64 exec, vcc
	s_cbranch_execz .LBB15_15
; %bb.14:                               ;   in Loop: Header=BB15_5 Depth=2
	buffer_load_dword v0, off, s[96:99], 0 offset:272 ; 4-byte Folded Reload
	buffer_load_dword v1, off, s[96:99], 0 offset:276 ; 4-byte Folded Reload
	s_waitcnt vmcnt(1)
	v_add_co_u32_e32 v0, vcc, v59, v0
	s_waitcnt vmcnt(0)
	v_addc_co_u32_e32 v1, vcc, v42, v1, vcc
	global_load_dwordx2 v[8:9], v[0:1], off
.LBB15_15:                              ;   in Loop: Header=BB15_5 Depth=2
	s_or_b64 exec, exec, s[68:69]
	global_load_dwordx2 v[0:1], v[2:3], off offset:40
	s_waitcnt vmcnt(0)
	buffer_store_dword v0, off, s[96:99], 0 offset:120 ; 4-byte Folded Spill
	s_nop 0
	buffer_store_dword v1, off, s[96:99], 0 offset:124 ; 4-byte Folded Spill
	v_mov_b32_e32 v0, 0
	v_mov_b32_e32 v1, 0
	buffer_store_dword v0, off, s[96:99], 0 offset:8 ; 4-byte Folded Spill
	s_nop 0
	buffer_store_dword v1, off, s[96:99], 0 offset:12 ; 4-byte Folded Spill
	v_mov_b32_e32 v0, 0
	v_mov_b32_e32 v1, 0
	buffer_store_dword v0, off, s[96:99], 0 offset:16 ; 4-byte Folded Spill
	s_nop 0
	buffer_store_dword v1, off, s[96:99], 0 offset:20 ; 4-byte Folded Spill
	s_mov_b64 s[68:69], exec
	v_readlane_b32 vcc_lo, v63, 2
	v_readlane_b32 vcc_hi, v63, 3
	s_and_b64 vcc, s[68:69], vcc
	s_mov_b64 exec, vcc
	s_cbranch_execz .LBB15_17
; %bb.16:                               ;   in Loop: Header=BB15_5 Depth=2
	buffer_load_dword v0, off, s[96:99], 0 offset:280 ; 4-byte Folded Reload
	buffer_load_dword v1, off, s[96:99], 0 offset:284 ; 4-byte Folded Reload
	s_waitcnt vmcnt(1)
	v_add_co_u32_e32 v0, vcc, v59, v0
	s_waitcnt vmcnt(0)
	v_addc_co_u32_e32 v1, vcc, v42, v1, vcc
	global_load_dwordx2 v[0:1], v[0:1], off
	s_waitcnt vmcnt(0)
	buffer_store_dword v0, off, s[96:99], 0 offset:16 ; 4-byte Folded Spill
	s_nop 0
	buffer_store_dword v1, off, s[96:99], 0 offset:20 ; 4-byte Folded Spill
.LBB15_17:                              ;   in Loop: Header=BB15_5 Depth=2
	s_or_b64 exec, exec, s[68:69]
	global_load_dwordx2 v[0:1], v[2:3], off offset:48
	s_waitcnt vmcnt(0)
	buffer_store_dword v0, off, s[96:99], 0 offset:128 ; 4-byte Folded Spill
	s_nop 0
	buffer_store_dword v1, off, s[96:99], 0 offset:132 ; 4-byte Folded Spill
	s_mov_b64 s[68:69], exec
	v_readlane_b32 vcc_lo, v63, 4
	v_readlane_b32 vcc_hi, v63, 5
	s_and_b64 vcc, s[68:69], vcc
	s_mov_b64 exec, vcc
	s_cbranch_execz .LBB15_19
; %bb.18:                               ;   in Loop: Header=BB15_5 Depth=2
	buffer_load_dword v0, off, s[96:99], 0 offset:288 ; 4-byte Folded Reload
	buffer_load_dword v1, off, s[96:99], 0 offset:292 ; 4-byte Folded Reload
	s_waitcnt vmcnt(1)
	v_add_co_u32_e32 v0, vcc, v59, v0
	s_waitcnt vmcnt(0)
	v_addc_co_u32_e32 v1, vcc, v42, v1, vcc
	global_load_dwordx2 v[0:1], v[0:1], off
	s_waitcnt vmcnt(0)
	buffer_store_dword v0, off, s[96:99], 0 offset:8 ; 4-byte Folded Spill
	s_nop 0
	buffer_store_dword v1, off, s[96:99], 0 offset:12 ; 4-byte Folded Spill
.LBB15_19:                              ;   in Loop: Header=BB15_5 Depth=2
	s_or_b64 exec, exec, s[68:69]
	global_load_dwordx2 v[0:1], v[2:3], off offset:56
	s_waitcnt vmcnt(0)
	buffer_store_dword v0, off, s[96:99], 0 offset:136 ; 4-byte Folded Spill
	s_nop 0
	buffer_store_dword v1, off, s[96:99], 0 offset:140 ; 4-byte Folded Spill
	v_mov_b32_e32 v0, 0
	v_mov_b32_e32 v1, 0
	buffer_store_dword v0, off, s[96:99], 0 offset:24 ; 4-byte Folded Spill
	s_nop 0
	buffer_store_dword v1, off, s[96:99], 0 offset:28 ; 4-byte Folded Spill
	v_mov_b32_e32 v0, 0
	v_mov_b32_e32 v1, 0
	buffer_store_dword v0, off, s[96:99], 0 offset:32 ; 4-byte Folded Spill
	s_nop 0
	buffer_store_dword v1, off, s[96:99], 0 offset:36 ; 4-byte Folded Spill
	s_mov_b64 s[68:69], exec
	v_readlane_b32 vcc_lo, v63, 6
	v_readlane_b32 vcc_hi, v63, 7
	s_and_b64 vcc, s[68:69], vcc
	s_mov_b64 exec, vcc
	s_cbranch_execz .LBB15_21
; %bb.20:                               ;   in Loop: Header=BB15_5 Depth=2
	buffer_load_dword v0, off, s[96:99], 0 offset:296 ; 4-byte Folded Reload
	buffer_load_dword v1, off, s[96:99], 0 offset:300 ; 4-byte Folded Reload
	s_waitcnt vmcnt(1)
	v_add_co_u32_e32 v0, vcc, v59, v0
	s_waitcnt vmcnt(0)
	v_addc_co_u32_e32 v1, vcc, v42, v1, vcc
	global_load_dwordx2 v[0:1], v[0:1], off
	s_waitcnt vmcnt(0)
	buffer_store_dword v0, off, s[96:99], 0 offset:32 ; 4-byte Folded Spill
	s_nop 0
	buffer_store_dword v1, off, s[96:99], 0 offset:36 ; 4-byte Folded Spill
.LBB15_21:                              ;   in Loop: Header=BB15_5 Depth=2
	s_or_b64 exec, exec, s[68:69]
	global_load_dwordx2 v[0:1], v[2:3], off offset:64
	s_waitcnt vmcnt(0)
	buffer_store_dword v0, off, s[96:99], 0 offset:144 ; 4-byte Folded Spill
	s_nop 0
	buffer_store_dword v1, off, s[96:99], 0 offset:148 ; 4-byte Folded Spill
	s_mov_b64 s[68:69], exec
	v_readlane_b32 vcc_lo, v63, 8
	v_readlane_b32 vcc_hi, v63, 9
	s_and_b64 vcc, s[68:69], vcc
	s_mov_b64 exec, vcc
	s_cbranch_execz .LBB15_23
; %bb.22:                               ;   in Loop: Header=BB15_5 Depth=2
	buffer_load_dword v0, off, s[96:99], 0 offset:304 ; 4-byte Folded Reload
	buffer_load_dword v1, off, s[96:99], 0 offset:308 ; 4-byte Folded Reload
	s_waitcnt vmcnt(1)
	v_add_co_u32_e32 v0, vcc, v59, v0
	s_waitcnt vmcnt(0)
	v_addc_co_u32_e32 v1, vcc, v42, v1, vcc
	global_load_dwordx2 v[0:1], v[0:1], off
	s_waitcnt vmcnt(0)
	buffer_store_dword v0, off, s[96:99], 0 offset:24 ; 4-byte Folded Spill
	s_nop 0
	buffer_store_dword v1, off, s[96:99], 0 offset:28 ; 4-byte Folded Spill
.LBB15_23:                              ;   in Loop: Header=BB15_5 Depth=2
	s_or_b64 exec, exec, s[68:69]
	global_load_dwordx2 v[0:1], v[2:3], off offset:72
	s_waitcnt vmcnt(0)
	buffer_store_dword v0, off, s[96:99], 0 offset:152 ; 4-byte Folded Spill
	s_nop 0
	buffer_store_dword v1, off, s[96:99], 0 offset:156 ; 4-byte Folded Spill
	v_mov_b32_e32 v0, 0
	v_mov_b32_e32 v1, 0
	buffer_store_dword v0, off, s[96:99], 0 offset:40 ; 4-byte Folded Spill
	s_nop 0
	buffer_store_dword v1, off, s[96:99], 0 offset:44 ; 4-byte Folded Spill
	v_mov_b32_e32 v0, 0
	v_mov_b32_e32 v1, 0
	buffer_store_dword v0, off, s[96:99], 0 offset:48 ; 4-byte Folded Spill
	s_nop 0
	buffer_store_dword v1, off, s[96:99], 0 offset:52 ; 4-byte Folded Spill
	s_mov_b64 s[68:69], exec
	v_readlane_b32 vcc_lo, v63, 10
	v_readlane_b32 vcc_hi, v63, 11
	s_and_b64 vcc, s[68:69], vcc
	s_mov_b64 exec, vcc
	s_cbranch_execz .LBB15_25
; %bb.24:                               ;   in Loop: Header=BB15_5 Depth=2
	buffer_load_dword v0, off, s[96:99], 0 offset:312 ; 4-byte Folded Reload
	buffer_load_dword v1, off, s[96:99], 0 offset:316 ; 4-byte Folded Reload
	s_waitcnt vmcnt(1)
	v_add_co_u32_e32 v0, vcc, v59, v0
	s_waitcnt vmcnt(0)
	v_addc_co_u32_e32 v1, vcc, v42, v1, vcc
	global_load_dwordx2 v[0:1], v[0:1], off
	s_waitcnt vmcnt(0)
	buffer_store_dword v0, off, s[96:99], 0 offset:48 ; 4-byte Folded Spill
	s_nop 0
	buffer_store_dword v1, off, s[96:99], 0 offset:52 ; 4-byte Folded Spill
.LBB15_25:                              ;   in Loop: Header=BB15_5 Depth=2
	s_or_b64 exec, exec, s[68:69]
	global_load_dwordx2 v[0:1], v[2:3], off offset:80
	s_waitcnt vmcnt(0)
	buffer_store_dword v0, off, s[96:99], 0 offset:160 ; 4-byte Folded Spill
	s_nop 0
	buffer_store_dword v1, off, s[96:99], 0 offset:164 ; 4-byte Folded Spill
	s_and_saveexec_b64 s[68:69], s[76:77]
	s_cbranch_execz .LBB15_27
; %bb.26:                               ;   in Loop: Header=BB15_5 Depth=2
	buffer_load_dword v0, off, s[96:99], 0 offset:320 ; 4-byte Folded Reload
	buffer_load_dword v1, off, s[96:99], 0 offset:324 ; 4-byte Folded Reload
	s_waitcnt vmcnt(1)
	v_add_co_u32_e32 v0, vcc, v59, v0
	s_waitcnt vmcnt(0)
	v_addc_co_u32_e32 v1, vcc, v42, v1, vcc
	global_load_dwordx2 v[0:1], v[0:1], off
	s_waitcnt vmcnt(0)
	buffer_store_dword v0, off, s[96:99], 0 offset:40 ; 4-byte Folded Spill
	s_nop 0
	buffer_store_dword v1, off, s[96:99], 0 offset:44 ; 4-byte Folded Spill
.LBB15_27:                              ;   in Loop: Header=BB15_5 Depth=2
	s_or_b64 exec, exec, s[68:69]
	global_load_dwordx2 v[0:1], v[2:3], off offset:88
	s_waitcnt vmcnt(0)
	buffer_store_dword v0, off, s[96:99], 0 offset:168 ; 4-byte Folded Spill
	s_nop 0
	buffer_store_dword v1, off, s[96:99], 0 offset:172 ; 4-byte Folded Spill
	v_mov_b32_e32 v0, 0
	v_mov_b32_e32 v1, 0
	buffer_store_dword v0, off, s[96:99], 0 offset:56 ; 4-byte Folded Spill
	s_nop 0
	buffer_store_dword v1, off, s[96:99], 0 offset:60 ; 4-byte Folded Spill
	v_mov_b32_e32 v0, 0
	v_mov_b32_e32 v1, 0
	buffer_store_dword v0, off, s[96:99], 0 offset:64 ; 4-byte Folded Spill
	s_nop 0
	buffer_store_dword v1, off, s[96:99], 0 offset:68 ; 4-byte Folded Spill
	s_and_saveexec_b64 s[68:69], s[78:79]
	s_cbranch_execz .LBB15_29
; %bb.28:                               ;   in Loop: Header=BB15_5 Depth=2
	buffer_load_dword v0, off, s[96:99], 0 offset:328 ; 4-byte Folded Reload
	buffer_load_dword v1, off, s[96:99], 0 offset:332 ; 4-byte Folded Reload
	s_waitcnt vmcnt(1)
	v_add_co_u32_e32 v0, vcc, v59, v0
	s_waitcnt vmcnt(0)
	v_addc_co_u32_e32 v1, vcc, v42, v1, vcc
	global_load_dwordx2 v[0:1], v[0:1], off
	s_waitcnt vmcnt(0)
	buffer_store_dword v0, off, s[96:99], 0 offset:64 ; 4-byte Folded Spill
	s_nop 0
	buffer_store_dword v1, off, s[96:99], 0 offset:68 ; 4-byte Folded Spill
.LBB15_29:                              ;   in Loop: Header=BB15_5 Depth=2
	s_or_b64 exec, exec, s[68:69]
	global_load_dwordx2 v[0:1], v[2:3], off offset:96
	s_waitcnt vmcnt(0)
	buffer_store_dword v0, off, s[96:99], 0 offset:176 ; 4-byte Folded Spill
	s_nop 0
	buffer_store_dword v1, off, s[96:99], 0 offset:180 ; 4-byte Folded Spill
	s_and_saveexec_b64 s[68:69], s[90:91]
	s_cbranch_execz .LBB15_31
; %bb.30:                               ;   in Loop: Header=BB15_5 Depth=2
	buffer_load_dword v0, off, s[96:99], 0 offset:336 ; 4-byte Folded Reload
	buffer_load_dword v1, off, s[96:99], 0 offset:340 ; 4-byte Folded Reload
	s_waitcnt vmcnt(1)
	v_add_co_u32_e32 v0, vcc, v59, v0
	s_waitcnt vmcnt(0)
	v_addc_co_u32_e32 v1, vcc, v42, v1, vcc
	global_load_dwordx2 v[0:1], v[0:1], off
	s_waitcnt vmcnt(0)
	buffer_store_dword v0, off, s[96:99], 0 offset:56 ; 4-byte Folded Spill
	s_nop 0
	buffer_store_dword v1, off, s[96:99], 0 offset:60 ; 4-byte Folded Spill
.LBB15_31:                              ;   in Loop: Header=BB15_5 Depth=2
	s_or_b64 exec, exec, s[68:69]
	global_load_dwordx2 v[0:1], v[2:3], off offset:104
	s_waitcnt vmcnt(0)
	buffer_store_dword v0, off, s[96:99], 0 offset:184 ; 4-byte Folded Spill
	s_nop 0
	buffer_store_dword v1, off, s[96:99], 0 offset:188 ; 4-byte Folded Spill
	v_mov_b32_e32 v0, 0
	v_mov_b32_e32 v1, 0
	buffer_store_dword v0, off, s[96:99], 0 offset:72 ; 4-byte Folded Spill
	s_nop 0
	buffer_store_dword v1, off, s[96:99], 0 offset:76 ; 4-byte Folded Spill
	v_mov_b32_e32 v0, 0
	v_mov_b32_e32 v1, 0
	s_and_saveexec_b64 s[68:69], s[60:61]
	s_cbranch_execz .LBB15_33
; %bb.32:                               ;   in Loop: Header=BB15_5 Depth=2
	buffer_load_dword v0, off, s[96:99], 0 offset:344 ; 4-byte Folded Reload
	buffer_load_dword v1, off, s[96:99], 0 offset:348 ; 4-byte Folded Reload
	s_waitcnt vmcnt(1)
	v_add_co_u32_e32 v0, vcc, v59, v0
	s_waitcnt vmcnt(0)
	v_addc_co_u32_e32 v1, vcc, v42, v1, vcc
	global_load_dwordx2 v[0:1], v[0:1], off
.LBB15_33:                              ;   in Loop: Header=BB15_5 Depth=2
	s_or_b64 exec, exec, s[68:69]
	global_load_dwordx2 v[4:5], v[2:3], off offset:112
	s_waitcnt vmcnt(0)
	buffer_store_dword v4, off, s[96:99], 0 offset:192 ; 4-byte Folded Spill
	s_nop 0
	buffer_store_dword v5, off, s[96:99], 0 offset:196 ; 4-byte Folded Spill
	s_and_saveexec_b64 s[68:69], s[62:63]
	s_cbranch_execz .LBB15_35
; %bb.34:                               ;   in Loop: Header=BB15_5 Depth=2
	buffer_load_dword v4, off, s[96:99], 0 offset:352 ; 4-byte Folded Reload
	buffer_load_dword v5, off, s[96:99], 0 offset:356 ; 4-byte Folded Reload
	s_waitcnt vmcnt(1)
	v_add_co_u32_e32 v4, vcc, v59, v4
	s_waitcnt vmcnt(0)
	v_addc_co_u32_e32 v5, vcc, v42, v5, vcc
	global_load_dwordx2 v[4:5], v[4:5], off
	s_waitcnt vmcnt(0)
	buffer_store_dword v4, off, s[96:99], 0 offset:72 ; 4-byte Folded Spill
	s_nop 0
	buffer_store_dword v5, off, s[96:99], 0 offset:76 ; 4-byte Folded Spill
.LBB15_35:                              ;   in Loop: Header=BB15_5 Depth=2
	s_or_b64 exec, exec, s[68:69]
	global_load_dwordx2 v[4:5], v[2:3], off offset:120
	v_mov_b32_e32 v14, 0
	v_mov_b32_e32 v20, 0
	;; [unrolled: 1-line block ×4, first 2 shown]
	s_waitcnt vmcnt(0)
	buffer_store_dword v4, off, s[96:99], 0 offset:200 ; 4-byte Folded Spill
	s_nop 0
	buffer_store_dword v5, off, s[96:99], 0 offset:204 ; 4-byte Folded Spill
	s_and_saveexec_b64 s[68:69], s[64:65]
	s_cbranch_execz .LBB15_37
; %bb.36:                               ;   in Loop: Header=BB15_5 Depth=2
	buffer_load_dword v4, off, s[96:99], 0 offset:360 ; 4-byte Folded Reload
	buffer_load_dword v5, off, s[96:99], 0 offset:364 ; 4-byte Folded Reload
	s_waitcnt vmcnt(1)
	v_add_co_u32_e32 v4, vcc, v59, v4
	s_waitcnt vmcnt(0)
	v_addc_co_u32_e32 v5, vcc, v42, v5, vcc
	global_load_dwordx2 v[20:21], v[4:5], off
.LBB15_37:                              ;   in Loop: Header=BB15_5 Depth=2
	s_or_b64 exec, exec, s[68:69]
	global_load_dwordx2 v[4:5], v[2:3], off offset:128
	s_waitcnt vmcnt(0)
	buffer_store_dword v4, off, s[96:99], 0 offset:208 ; 4-byte Folded Spill
	s_nop 0
	buffer_store_dword v5, off, s[96:99], 0 offset:212 ; 4-byte Folded Spill
	s_and_saveexec_b64 s[68:69], s[66:67]
	s_cbranch_execz .LBB15_39
; %bb.38:                               ;   in Loop: Header=BB15_5 Depth=2
	buffer_load_dword v4, off, s[96:99], 0 offset:368 ; 4-byte Folded Reload
	buffer_load_dword v5, off, s[96:99], 0 offset:372 ; 4-byte Folded Reload
	s_waitcnt vmcnt(1)
	v_add_co_u32_e32 v4, vcc, v59, v4
	s_waitcnt vmcnt(0)
	v_addc_co_u32_e32 v5, vcc, v42, v5, vcc
	global_load_dwordx2 v[14:15], v[4:5], off
.LBB15_39:                              ;   in Loop: Header=BB15_5 Depth=2
	s_or_b64 exec, exec, s[68:69]
	global_load_dwordx2 v[4:5], v[2:3], off offset:136
	v_mov_b32_e32 v30, 0
	v_mov_b32_e32 v31, 0
	s_waitcnt vmcnt(0)
	buffer_store_dword v4, off, s[96:99], 0 offset:216 ; 4-byte Folded Spill
	s_nop 0
	buffer_store_dword v5, off, s[96:99], 0 offset:220 ; 4-byte Folded Spill
	v_mov_b32_e32 v4, 0
	v_mov_b32_e32 v5, 0
	s_and_saveexec_b64 s[68:69], s[72:73]
	s_cbranch_execz .LBB15_41
; %bb.40:                               ;   in Loop: Header=BB15_5 Depth=2
	buffer_load_dword v4, off, s[96:99], 0 offset:376 ; 4-byte Folded Reload
	buffer_load_dword v5, off, s[96:99], 0 offset:380 ; 4-byte Folded Reload
	s_waitcnt vmcnt(1)
	v_add_co_u32_e32 v4, vcc, v59, v4
	s_waitcnt vmcnt(0)
	v_addc_co_u32_e32 v5, vcc, v42, v5, vcc
	global_load_dwordx2 v[4:5], v[4:5], off
.LBB15_41:                              ;   in Loop: Header=BB15_5 Depth=2
	s_or_b64 exec, exec, s[68:69]
	global_load_dwordx2 v[6:7], v[2:3], off offset:144
	s_waitcnt vmcnt(0)
	buffer_store_dword v6, off, s[96:99], 0 offset:224 ; 4-byte Folded Spill
	s_nop 0
	buffer_store_dword v7, off, s[96:99], 0 offset:228 ; 4-byte Folded Spill
	s_and_saveexec_b64 s[68:69], s[74:75]
	s_cbranch_execz .LBB15_43
; %bb.42:                               ;   in Loop: Header=BB15_5 Depth=2
	buffer_load_dword v6, off, s[96:99], 0 offset:384 ; 4-byte Folded Reload
	buffer_load_dword v7, off, s[96:99], 0 offset:388 ; 4-byte Folded Reload
	s_waitcnt vmcnt(1)
	v_add_co_u32_e32 v6, vcc, v59, v6
	s_waitcnt vmcnt(0)
	v_addc_co_u32_e32 v7, vcc, v42, v7, vcc
	global_load_dwordx2 v[30:31], v[6:7], off
.LBB15_43:                              ;   in Loop: Header=BB15_5 Depth=2
	s_or_b64 exec, exec, s[68:69]
	global_load_dwordx2 v[36:37], v[2:3], off offset:152
	v_mov_b32_e32 v10, 0
	v_mov_b32_e32 v38, 0
	v_mov_b32_e32 v11, 0
	v_mov_b32_e32 v39, 0
	s_and_saveexec_b64 s[68:69], s[84:85]
	s_cbranch_execz .LBB15_45
; %bb.44:                               ;   in Loop: Header=BB15_5 Depth=2
	buffer_load_dword v6, off, s[96:99], 0 offset:392 ; 4-byte Folded Reload
	buffer_load_dword v7, off, s[96:99], 0 offset:396 ; 4-byte Folded Reload
	s_waitcnt vmcnt(1)
	v_add_co_u32_e32 v6, vcc, v59, v6
	s_waitcnt vmcnt(0)
	v_addc_co_u32_e32 v7, vcc, v42, v7, vcc
	global_load_dwordx2 v[38:39], v[6:7], off
.LBB15_45:                              ;   in Loop: Header=BB15_5 Depth=2
	s_or_b64 exec, exec, s[68:69]
	global_load_dwordx2 v[16:17], v[2:3], off offset:160
	s_and_saveexec_b64 s[68:69], s[92:93]
	s_cbranch_execz .LBB15_47
; %bb.46:                               ;   in Loop: Header=BB15_5 Depth=2
	buffer_load_dword v6, off, s[96:99], 0 offset:400 ; 4-byte Folded Reload
	buffer_load_dword v7, off, s[96:99], 0 offset:404 ; 4-byte Folded Reload
	s_waitcnt vmcnt(1)
	v_add_co_u32_e32 v6, vcc, v59, v6
	s_waitcnt vmcnt(0)
	v_addc_co_u32_e32 v7, vcc, v42, v7, vcc
	global_load_dwordx2 v[10:11], v[6:7], off
.LBB15_47:                              ;   in Loop: Header=BB15_5 Depth=2
	s_or_b64 exec, exec, s[68:69]
	global_load_dwordx2 v[18:19], v[2:3], off offset:168
	v_mov_b32_e32 v44, 0
	v_mov_b32_e32 v46, 0
	v_mov_b32_e32 v45, 0
	v_mov_b32_e32 v47, 0
	s_and_saveexec_b64 s[68:69], s[94:95]
	s_cbranch_execz .LBB15_49
; %bb.48:                               ;   in Loop: Header=BB15_5 Depth=2
	buffer_load_dword v6, off, s[96:99], 0 offset:408 ; 4-byte Folded Reload
	buffer_load_dword v7, off, s[96:99], 0 offset:412 ; 4-byte Folded Reload
	s_waitcnt vmcnt(1)
	v_add_co_u32_e32 v6, vcc, v59, v6
	s_waitcnt vmcnt(0)
	v_addc_co_u32_e32 v7, vcc, v42, v7, vcc
	global_load_dwordx2 v[46:47], v[6:7], off
.LBB15_49:                              ;   in Loop: Header=BB15_5 Depth=2
	s_or_b64 exec, exec, s[68:69]
	global_load_dwordx2 v[24:25], v[2:3], off offset:176
	;; [unrolled: 30-line block ×4, first 2 shown]
	s_and_saveexec_b64 s[68:69], s[86:87]
	s_cbranch_execz .LBB15_4
; %bb.58:                               ;   in Loop: Header=BB15_5 Depth=2
	buffer_load_dword v6, off, s[96:99], 0 offset:448 ; 4-byte Folded Reload
	buffer_load_dword v7, off, s[96:99], 0 offset:452 ; 4-byte Folded Reload
	s_waitcnt vmcnt(1)
	v_add_co_u32_e32 v6, vcc, v59, v6
	s_waitcnt vmcnt(0)
	v_addc_co_u32_e32 v7, vcc, v42, v7, vcc
	global_load_dwordx2 v[6:7], v[6:7], off
	s_branch .LBB15_4
.LBB15_59:                              ;   in Loop: Header=BB15_2 Depth=1
	s_or_b64 exec, exec, s[58:59]
	buffer_load_dword v9, off, s[96:99], 0 offset:464 ; 4-byte Folded Reload
	buffer_load_dword v8, off, s[96:99], 0 offset:468 ; 4-byte Folded Reload
	;; [unrolled: 1-line block ×5, first 2 shown]
	v_readlane_b32 s16, v62, 50
	v_readlane_b32 s17, v62, 51
	s_branch .LBB15_61
.LBB15_60:                              ;   in Loop: Header=BB15_2 Depth=1
	v_mov_b32_e32 v60, 0
	v_mov_b32_e32 v61, 0
.LBB15_61:                              ;   in Loop: Header=BB15_2 Depth=1
	v_readlane_b32 s8, v62, 54
	v_readlane_b32 s9, v62, 55
; %bb.62:                               ;   in Loop: Header=BB15_2 Depth=1
	s_waitcnt vmcnt(0)
	v_mul_lo_u32 v0, v5, s17
	v_readlane_b32 s4, v62, 20
	v_mul_lo_u32 v2, s4, v51
	v_readlane_b32 s0, v62, 15
	v_ashrrev_i32_e32 v1, 31, v0
	v_lshlrev_b64 v[0:1], 3, v[0:1]
	v_readlane_b32 s1, v62, 16
	v_mov_b32_e32 v3, s1
	v_add_co_u32_e32 v4, vcc, s0, v0
	v_readlane_b32 s5, v62, 21
	v_addc_co_u32_e32 v5, vcc, v3, v1, vcc
	v_ashrrev_i32_e32 v3, 31, v2
	v_lshlrev_b64 v[0:1], 3, v[2:3]
	v_mul_lo_u32 v2, s5, v6
	buffer_load_dword v6, off, s[96:99], 0 offset:456 ; 4-byte Folded Reload
	buffer_load_dword v7, off, s[96:99], 0 offset:460 ; 4-byte Folded Reload
	v_readlane_b32 s6, v62, 22
	v_add_co_u32_e32 v4, vcc, v4, v0
	v_ashrrev_i32_e32 v3, 31, v2
	v_addc_co_u32_e32 v5, vcc, v5, v1, vcc
	v_lshlrev_b64 v[0:1], 3, v[2:3]
	v_mul_lo_u32 v2, s6, v8
	v_readlane_b32 s7, v62, 23
	v_add_co_u32_e32 v4, vcc, v4, v0
	v_ashrrev_i32_e32 v3, 31, v2
	v_addc_co_u32_e32 v5, vcc, v5, v1, vcc
	v_lshlrev_b64 v[0:1], 3, v[2:3]
	v_mul_lo_u32 v2, s7, v9
	v_add_co_u32_e32 v4, vcc, v4, v0
	v_addc_co_u32_e32 v5, vcc, v5, v1, vcc
	v_readlane_b32 s0, v62, 24
	v_ashrrev_i32_e32 v3, 31, v2
	v_lshlrev_b64 v[0:1], 3, v[2:3]
	v_add_co_u32_e64 v0, s[2:3], v4, v0
	v_addc_co_u32_e64 v1, s[2:3], v5, v1, s[2:3]
	global_store_dwordx2 v[0:1], v[60:61], off
	s_waitcnt vmcnt(2)
	v_add_co_u32_e32 v6, vcc, s0, v6
	v_readlane_b32 s0, v62, 5
	s_waitcnt vmcnt(1)
	v_addc_co_u32_e32 v7, vcc, 0, v7, vcc
	v_readlane_b32 s1, v62, 6
	v_cmp_le_i64_e32 vcc, s[0:1], v[6:7]
	s_or_b64 s[8:9], vcc, s[8:9]
	s_andn2_b64 exec, exec, s[8:9]
	s_cbranch_execnz .LBB15_2
.LBB15_63:
	s_endpgm
	.section	.rodata,"a",@progbits
	.p2align	6, 0x0
	.amdhsa_kernel _ZN2at6native12_GLOBAL__N_143conv_depthwise3d_cuda_backward_input_kernelIddLi3ELi3ELi3ELin1ELin1ELin1ELin1ELin1ELin1EEEvN5torch10headeronly6detail27GenericPackedTensorAccessorINS5_14TensorAccessorIN3c108ArrayRefIlEEKT_Lm4ENS4_16DefaultPtrTraitsEiEENS_6detail16IndexBoundsCheckILm5EiEESC_Lm5ESD_iEENS6_INS7_ISA_SB_Lm4ESD_iEESH_SB_Lm5ESD_iEESI_iiiiiiiii
		.amdhsa_group_segment_fixed_size 0
		.amdhsa_private_segment_fixed_size 516
		.amdhsa_kernarg_size 440
		.amdhsa_user_sgpr_count 6
		.amdhsa_user_sgpr_private_segment_buffer 1
		.amdhsa_user_sgpr_dispatch_ptr 0
		.amdhsa_user_sgpr_queue_ptr 0
		.amdhsa_user_sgpr_kernarg_segment_ptr 1
		.amdhsa_user_sgpr_dispatch_id 0
		.amdhsa_user_sgpr_flat_scratch_init 0
		.amdhsa_user_sgpr_private_segment_size 0
		.amdhsa_uses_dynamic_stack 0
		.amdhsa_system_sgpr_private_segment_wavefront_offset 1
		.amdhsa_system_sgpr_workgroup_id_x 1
		.amdhsa_system_sgpr_workgroup_id_y 0
		.amdhsa_system_sgpr_workgroup_id_z 0
		.amdhsa_system_sgpr_workgroup_info 0
		.amdhsa_system_vgpr_workitem_id 0
		.amdhsa_next_free_vgpr 64
		.amdhsa_next_free_sgpr 100
		.amdhsa_reserve_vcc 1
		.amdhsa_reserve_flat_scratch 0
		.amdhsa_float_round_mode_32 0
		.amdhsa_float_round_mode_16_64 0
		.amdhsa_float_denorm_mode_32 3
		.amdhsa_float_denorm_mode_16_64 3
		.amdhsa_dx10_clamp 1
		.amdhsa_ieee_mode 1
		.amdhsa_fp16_overflow 0
		.amdhsa_exception_fp_ieee_invalid_op 0
		.amdhsa_exception_fp_denorm_src 0
		.amdhsa_exception_fp_ieee_div_zero 0
		.amdhsa_exception_fp_ieee_overflow 0
		.amdhsa_exception_fp_ieee_underflow 0
		.amdhsa_exception_fp_ieee_inexact 0
		.amdhsa_exception_int_div_zero 0
	.end_amdhsa_kernel
	.section	.text._ZN2at6native12_GLOBAL__N_143conv_depthwise3d_cuda_backward_input_kernelIddLi3ELi3ELi3ELin1ELin1ELin1ELin1ELin1ELin1EEEvN5torch10headeronly6detail27GenericPackedTensorAccessorINS5_14TensorAccessorIN3c108ArrayRefIlEEKT_Lm4ENS4_16DefaultPtrTraitsEiEENS_6detail16IndexBoundsCheckILm5EiEESC_Lm5ESD_iEENS6_INS7_ISA_SB_Lm4ESD_iEESH_SB_Lm5ESD_iEESI_iiiiiiiii,"axG",@progbits,_ZN2at6native12_GLOBAL__N_143conv_depthwise3d_cuda_backward_input_kernelIddLi3ELi3ELi3ELin1ELin1ELin1ELin1ELin1ELin1EEEvN5torch10headeronly6detail27GenericPackedTensorAccessorINS5_14TensorAccessorIN3c108ArrayRefIlEEKT_Lm4ENS4_16DefaultPtrTraitsEiEENS_6detail16IndexBoundsCheckILm5EiEESC_Lm5ESD_iEENS6_INS7_ISA_SB_Lm4ESD_iEESH_SB_Lm5ESD_iEESI_iiiiiiiii,comdat
.Lfunc_end15:
	.size	_ZN2at6native12_GLOBAL__N_143conv_depthwise3d_cuda_backward_input_kernelIddLi3ELi3ELi3ELin1ELin1ELin1ELin1ELin1ELin1EEEvN5torch10headeronly6detail27GenericPackedTensorAccessorINS5_14TensorAccessorIN3c108ArrayRefIlEEKT_Lm4ENS4_16DefaultPtrTraitsEiEENS_6detail16IndexBoundsCheckILm5EiEESC_Lm5ESD_iEENS6_INS7_ISA_SB_Lm4ESD_iEESH_SB_Lm5ESD_iEESI_iiiiiiiii, .Lfunc_end15-_ZN2at6native12_GLOBAL__N_143conv_depthwise3d_cuda_backward_input_kernelIddLi3ELi3ELi3ELin1ELin1ELin1ELin1ELin1ELin1EEEvN5torch10headeronly6detail27GenericPackedTensorAccessorINS5_14TensorAccessorIN3c108ArrayRefIlEEKT_Lm4ENS4_16DefaultPtrTraitsEiEENS_6detail16IndexBoundsCheckILm5EiEESC_Lm5ESD_iEENS6_INS7_ISA_SB_Lm4ESD_iEESH_SB_Lm5ESD_iEESI_iiiiiiiii
                                        ; -- End function
	.set _ZN2at6native12_GLOBAL__N_143conv_depthwise3d_cuda_backward_input_kernelIddLi3ELi3ELi3ELin1ELin1ELin1ELin1ELin1ELin1EEEvN5torch10headeronly6detail27GenericPackedTensorAccessorINS5_14TensorAccessorIN3c108ArrayRefIlEEKT_Lm4ENS4_16DefaultPtrTraitsEiEENS_6detail16IndexBoundsCheckILm5EiEESC_Lm5ESD_iEENS6_INS7_ISA_SB_Lm4ESD_iEESH_SB_Lm5ESD_iEESI_iiiiiiiii.num_vgpr, 64
	.set _ZN2at6native12_GLOBAL__N_143conv_depthwise3d_cuda_backward_input_kernelIddLi3ELi3ELi3ELin1ELin1ELin1ELin1ELin1ELin1EEEvN5torch10headeronly6detail27GenericPackedTensorAccessorINS5_14TensorAccessorIN3c108ArrayRefIlEEKT_Lm4ENS4_16DefaultPtrTraitsEiEENS_6detail16IndexBoundsCheckILm5EiEESC_Lm5ESD_iEENS6_INS7_ISA_SB_Lm4ESD_iEESH_SB_Lm5ESD_iEESI_iiiiiiiii.num_agpr, 0
	.set _ZN2at6native12_GLOBAL__N_143conv_depthwise3d_cuda_backward_input_kernelIddLi3ELi3ELi3ELin1ELin1ELin1ELin1ELin1ELin1EEEvN5torch10headeronly6detail27GenericPackedTensorAccessorINS5_14TensorAccessorIN3c108ArrayRefIlEEKT_Lm4ENS4_16DefaultPtrTraitsEiEENS_6detail16IndexBoundsCheckILm5EiEESC_Lm5ESD_iEENS6_INS7_ISA_SB_Lm4ESD_iEESH_SB_Lm5ESD_iEESI_iiiiiiiii.numbered_sgpr, 100
	.set _ZN2at6native12_GLOBAL__N_143conv_depthwise3d_cuda_backward_input_kernelIddLi3ELi3ELi3ELin1ELin1ELin1ELin1ELin1ELin1EEEvN5torch10headeronly6detail27GenericPackedTensorAccessorINS5_14TensorAccessorIN3c108ArrayRefIlEEKT_Lm4ENS4_16DefaultPtrTraitsEiEENS_6detail16IndexBoundsCheckILm5EiEESC_Lm5ESD_iEENS6_INS7_ISA_SB_Lm4ESD_iEESH_SB_Lm5ESD_iEESI_iiiiiiiii.num_named_barrier, 0
	.set _ZN2at6native12_GLOBAL__N_143conv_depthwise3d_cuda_backward_input_kernelIddLi3ELi3ELi3ELin1ELin1ELin1ELin1ELin1ELin1EEEvN5torch10headeronly6detail27GenericPackedTensorAccessorINS5_14TensorAccessorIN3c108ArrayRefIlEEKT_Lm4ENS4_16DefaultPtrTraitsEiEENS_6detail16IndexBoundsCheckILm5EiEESC_Lm5ESD_iEENS6_INS7_ISA_SB_Lm4ESD_iEESH_SB_Lm5ESD_iEESI_iiiiiiiii.private_seg_size, 516
	.set _ZN2at6native12_GLOBAL__N_143conv_depthwise3d_cuda_backward_input_kernelIddLi3ELi3ELi3ELin1ELin1ELin1ELin1ELin1ELin1EEEvN5torch10headeronly6detail27GenericPackedTensorAccessorINS5_14TensorAccessorIN3c108ArrayRefIlEEKT_Lm4ENS4_16DefaultPtrTraitsEiEENS_6detail16IndexBoundsCheckILm5EiEESC_Lm5ESD_iEENS6_INS7_ISA_SB_Lm4ESD_iEESH_SB_Lm5ESD_iEESI_iiiiiiiii.uses_vcc, 1
	.set _ZN2at6native12_GLOBAL__N_143conv_depthwise3d_cuda_backward_input_kernelIddLi3ELi3ELi3ELin1ELin1ELin1ELin1ELin1ELin1EEEvN5torch10headeronly6detail27GenericPackedTensorAccessorINS5_14TensorAccessorIN3c108ArrayRefIlEEKT_Lm4ENS4_16DefaultPtrTraitsEiEENS_6detail16IndexBoundsCheckILm5EiEESC_Lm5ESD_iEENS6_INS7_ISA_SB_Lm4ESD_iEESH_SB_Lm5ESD_iEESI_iiiiiiiii.uses_flat_scratch, 0
	.set _ZN2at6native12_GLOBAL__N_143conv_depthwise3d_cuda_backward_input_kernelIddLi3ELi3ELi3ELin1ELin1ELin1ELin1ELin1ELin1EEEvN5torch10headeronly6detail27GenericPackedTensorAccessorINS5_14TensorAccessorIN3c108ArrayRefIlEEKT_Lm4ENS4_16DefaultPtrTraitsEiEENS_6detail16IndexBoundsCheckILm5EiEESC_Lm5ESD_iEENS6_INS7_ISA_SB_Lm4ESD_iEESH_SB_Lm5ESD_iEESI_iiiiiiiii.has_dyn_sized_stack, 0
	.set _ZN2at6native12_GLOBAL__N_143conv_depthwise3d_cuda_backward_input_kernelIddLi3ELi3ELi3ELin1ELin1ELin1ELin1ELin1ELin1EEEvN5torch10headeronly6detail27GenericPackedTensorAccessorINS5_14TensorAccessorIN3c108ArrayRefIlEEKT_Lm4ENS4_16DefaultPtrTraitsEiEENS_6detail16IndexBoundsCheckILm5EiEESC_Lm5ESD_iEENS6_INS7_ISA_SB_Lm4ESD_iEESH_SB_Lm5ESD_iEESI_iiiiiiiii.has_recursion, 0
	.set _ZN2at6native12_GLOBAL__N_143conv_depthwise3d_cuda_backward_input_kernelIddLi3ELi3ELi3ELin1ELin1ELin1ELin1ELin1ELin1EEEvN5torch10headeronly6detail27GenericPackedTensorAccessorINS5_14TensorAccessorIN3c108ArrayRefIlEEKT_Lm4ENS4_16DefaultPtrTraitsEiEENS_6detail16IndexBoundsCheckILm5EiEESC_Lm5ESD_iEENS6_INS7_ISA_SB_Lm4ESD_iEESH_SB_Lm5ESD_iEESI_iiiiiiiii.has_indirect_call, 0
	.section	.AMDGPU.csdata,"",@progbits
; Kernel info:
; codeLenInByte = 9760
; TotalNumSgprs: 104
; NumVgprs: 64
; ScratchSize: 516
; MemoryBound: 0
; FloatMode: 240
; IeeeMode: 1
; LDSByteSize: 0 bytes/workgroup (compile time only)
; SGPRBlocks: 12
; VGPRBlocks: 15
; NumSGPRsForWavesPerEU: 104
; NumVGPRsForWavesPerEU: 64
; Occupancy: 4
; WaveLimiterHint : 0
; COMPUTE_PGM_RSRC2:SCRATCH_EN: 1
; COMPUTE_PGM_RSRC2:USER_SGPR: 6
; COMPUTE_PGM_RSRC2:TRAP_HANDLER: 0
; COMPUTE_PGM_RSRC2:TGID_X_EN: 1
; COMPUTE_PGM_RSRC2:TGID_Y_EN: 0
; COMPUTE_PGM_RSRC2:TGID_Z_EN: 0
; COMPUTE_PGM_RSRC2:TIDIG_COMP_CNT: 0
	.section	.text._ZN2at6native12_GLOBAL__N_143conv_depthwise3d_cuda_backward_input_kernelIddLin1ELin1ELin1ELin1ELin1ELin1ELin1ELin1ELin1EEEvN5torch10headeronly6detail27GenericPackedTensorAccessorINS5_14TensorAccessorIN3c108ArrayRefIlEEKT_Lm4ENS4_16DefaultPtrTraitsEiEENS_6detail16IndexBoundsCheckILm5EiEESC_Lm5ESD_iEENS6_INS7_ISA_SB_Lm4ESD_iEESH_SB_Lm5ESD_iEESI_iiiiiiiii,"axG",@progbits,_ZN2at6native12_GLOBAL__N_143conv_depthwise3d_cuda_backward_input_kernelIddLin1ELin1ELin1ELin1ELin1ELin1ELin1ELin1ELin1EEEvN5torch10headeronly6detail27GenericPackedTensorAccessorINS5_14TensorAccessorIN3c108ArrayRefIlEEKT_Lm4ENS4_16DefaultPtrTraitsEiEENS_6detail16IndexBoundsCheckILm5EiEESC_Lm5ESD_iEENS6_INS7_ISA_SB_Lm4ESD_iEESH_SB_Lm5ESD_iEESI_iiiiiiiii,comdat
	.globl	_ZN2at6native12_GLOBAL__N_143conv_depthwise3d_cuda_backward_input_kernelIddLin1ELin1ELin1ELin1ELin1ELin1ELin1ELin1ELin1EEEvN5torch10headeronly6detail27GenericPackedTensorAccessorINS5_14TensorAccessorIN3c108ArrayRefIlEEKT_Lm4ENS4_16DefaultPtrTraitsEiEENS_6detail16IndexBoundsCheckILm5EiEESC_Lm5ESD_iEENS6_INS7_ISA_SB_Lm4ESD_iEESH_SB_Lm5ESD_iEESI_iiiiiiiii ; -- Begin function _ZN2at6native12_GLOBAL__N_143conv_depthwise3d_cuda_backward_input_kernelIddLin1ELin1ELin1ELin1ELin1ELin1ELin1ELin1ELin1EEEvN5torch10headeronly6detail27GenericPackedTensorAccessorINS5_14TensorAccessorIN3c108ArrayRefIlEEKT_Lm4ENS4_16DefaultPtrTraitsEiEENS_6detail16IndexBoundsCheckILm5EiEESC_Lm5ESD_iEENS6_INS7_ISA_SB_Lm4ESD_iEESH_SB_Lm5ESD_iEESI_iiiiiiiii
	.p2align	8
	.type	_ZN2at6native12_GLOBAL__N_143conv_depthwise3d_cuda_backward_input_kernelIddLin1ELin1ELin1ELin1ELin1ELin1ELin1ELin1ELin1EEEvN5torch10headeronly6detail27GenericPackedTensorAccessorINS5_14TensorAccessorIN3c108ArrayRefIlEEKT_Lm4ENS4_16DefaultPtrTraitsEiEENS_6detail16IndexBoundsCheckILm5EiEESC_Lm5ESD_iEENS6_INS7_ISA_SB_Lm4ESD_iEESH_SB_Lm5ESD_iEESI_iiiiiiiii,@function
_ZN2at6native12_GLOBAL__N_143conv_depthwise3d_cuda_backward_input_kernelIddLin1ELin1ELin1ELin1ELin1ELin1ELin1ELin1ELin1EEEvN5torch10headeronly6detail27GenericPackedTensorAccessorINS5_14TensorAccessorIN3c108ArrayRefIlEEKT_Lm4ENS4_16DefaultPtrTraitsEiEENS_6detail16IndexBoundsCheckILm5EiEESC_Lm5ESD_iEENS6_INS7_ISA_SB_Lm4ESD_iEESH_SB_Lm5ESD_iEESI_iiiiiiiii: ; @_ZN2at6native12_GLOBAL__N_143conv_depthwise3d_cuda_backward_input_kernelIddLin1ELin1ELin1ELin1ELin1ELin1ELin1ELin1ELin1EEEvN5torch10headeronly6detail27GenericPackedTensorAccessorINS5_14TensorAccessorIN3c108ArrayRefIlEEKT_Lm4ENS4_16DefaultPtrTraitsEiEENS_6detail16IndexBoundsCheckILm5EiEESC_Lm5ESD_iEENS6_INS7_ISA_SB_Lm4ESD_iEESH_SB_Lm5ESD_iEESI_iiiiiiiii
; %bb.0:
	s_load_dwordx4 s[20:23], s[4:5], 0x38
	s_load_dwordx2 s[34:35], s[4:5], 0x48
	s_load_dword s0, s[4:5], 0xc4
	v_mov_b32_e32 v1, 0
	v_mov_b32_e32 v3, s6
	s_waitcnt lgkmcnt(0)
	s_abs_i32 s33, s21
	v_cvt_f32_u32_e32 v2, s33
	s_add_u32 s2, s4, 0xb8
	s_addc_u32 s3, s5, 0
	s_and_b32 s6, s0, 0xffff
	v_rcp_iflag_f32_e32 v2, v2
	v_mad_u64_u32 v[0:1], s[0:1], s6, v3, v[0:1]
	s_mul_i32 s40, s35, s20
	v_mul_f32_e32 v2, 0x4f7ffffe, v2
	v_cvt_u32_f32_e32 v2, v2
	s_ashr_i32 s41, s40, 31
	v_cmp_gt_i64_e32 vcc, s[40:41], v[0:1]
	v_readfirstlane_b32 s0, v2
	s_and_saveexec_b64 s[8:9], vcc
	s_cbranch_execz .LBB16_19
; %bb.1:
	s_load_dwordx4 s[24:27], s[4:5], 0xc
	s_load_dwordx2 s[42:43], s[4:5], 0x0
	s_sub_i32 s7, 0, s33
	s_mul_i32 s9, s7, s0
	s_mul_hi_u32 s9, s0, s9
	s_waitcnt lgkmcnt(0)
	s_abs_i32 s8, s24
	s_add_i32 s0, s0, s9
	s_mul_hi_u32 s0, s8, s0
	s_mul_i32 s9, s0, s33
	s_ashr_i32 s20, s21, 31
	s_ashr_i32 s1, s24, 31
	s_sub_i32 s8, s8, s9
	s_xor_b32 s1, s1, s20
	s_add_i32 s9, s0, 1
	s_sub_i32 s10, s8, s33
	s_cmp_ge_u32 s8, s33
	s_cselect_b32 s0, s9, s0
	s_load_dwordx8 s[12:19], s[4:5], 0x90
	s_load_dword s24, s[4:5], 0xb0
	s_load_dwordx4 s[28:31], s[4:5], 0x70
	s_cselect_b32 s8, s10, s8
	s_add_i32 s9, s0, 1
	s_cmp_ge_u32 s8, s33
	s_cselect_b32 s0, s9, s0
	s_xor_b32 s0, s0, s1
	s_waitcnt lgkmcnt(0)
	s_sub_i32 s31, s0, s1
	s_cmp_gt_i32 s28, 0
	s_cselect_b64 s[44:45], -1, 0
	s_cmp_gt_i32 s29, 0
	s_cselect_b64 s[46:47], -1, 0
	;; [unrolled: 2-line block ×4, first 2 shown]
	s_abs_i32 s65, s34
	v_cvt_f32_u32_e32 v3, s65
	s_abs_i32 s67, s23
	v_cvt_f32_u32_e32 v4, s67
	s_load_dword s8, s[2:3], 0x0
	s_load_dwordx2 s[50:51], s[4:5], 0x1c
                                        ; kill: killed $sgpr2 killed $sgpr3
	s_load_dwordx2 s[52:53], s[4:5], 0x30
	v_rcp_iflag_f32_e32 v3, v3
	s_sub_i32 s2, 0, s65
	s_abs_i32 s69, s22
	v_rcp_iflag_f32_e32 v4, v4
	v_mul_f32_e32 v3, 0x4f7ffffe, v3
	v_cvt_u32_f32_e32 v3, v3
	v_cvt_f32_u32_e32 v6, s69
	v_mul_f32_e32 v4, 0x4f7ffffe, v4
	v_cvt_u32_f32_e32 v4, v4
	v_mul_lo_u32 v5, s2, v3
	v_rcp_iflag_f32_e32 v6, v6
	s_sub_i32 s2, 0, s67
	s_abs_i32 s71, s12
	v_mul_hi_u32 v5, v3, v5
	v_cvt_f32_u32_e32 v7, s71
	s_abs_i32 s73, s13
	s_abs_i32 s74, s14
	v_add_u32_e32 v10, v3, v5
	v_mul_f32_e32 v5, 0x4f7ffffe, v6
	v_mul_lo_u32 v3, s2, v4
	v_cvt_u32_f32_e32 v5, v5
	s_sub_i32 s2, 0, s69
	s_load_dword s64, s[4:5], 0x7c
	v_mul_hi_u32 v3, v4, v3
	v_mul_lo_u32 v6, s2, v5
	s_sub_i32 s2, 0, s71
	s_load_dwordx2 s[54:55], s[4:5], 0x60
	s_load_dwordx4 s[36:39], s[4:5], 0x50
	v_add_u32_e32 v11, v4, v3
	v_mul_hi_u32 v3, v5, v6
	v_mul_lo_u32 v4, s7, v2
	v_rcp_iflag_f32_e32 v6, v7
	s_waitcnt lgkmcnt(0)
	s_mul_i32 s66, s8, s6
	v_add_u32_e32 v12, v5, v3
	v_cvt_f32_u32_e32 v5, s73
	v_mul_hi_u32 v3, v2, v4
	v_mul_f32_e32 v4, 0x4f7ffffe, v6
	v_cvt_f32_u32_e32 v6, s74
	v_rcp_iflag_f32_e32 v5, v5
	v_add_u32_e32 v13, v2, v3
	v_cvt_u32_f32_e32 v4, v4
	v_rcp_iflag_f32_e32 v2, v6
	v_mul_f32_e32 v5, 0x4f7ffffe, v5
	v_cvt_u32_f32_e32 v5, v5
	v_mul_lo_u32 v7, s2, v4
	v_mul_f32_e32 v2, 0x4f7ffffe, v2
	v_cvt_u32_f32_e32 v2, v2
	s_sub_i32 s2, 0, s73
	v_mul_lo_u32 v6, s2, v5
	s_sub_i32 s2, 0, s74
	v_mul_hi_u32 v3, v4, v7
	v_mul_lo_u32 v7, s2, v2
	v_mul_hi_u32 v6, v5, v6
	s_ashr_i32 s68, s34, 31
	v_add_u32_e32 v14, v4, v3
	v_mul_hi_u32 v3, v2, v7
	s_ashr_i32 s70, s23, 31
	s_ashr_i32 s72, s22, 31
	;; [unrolled: 1-line block ×3, first 2 shown]
	v_add_u32_e32 v16, v2, v3
	v_cndmask_b32_e64 v2, 0, 1, s[0:1]
	s_ashr_i32 s76, s13, 31
	v_add_u32_e32 v15, v5, v6
	s_ashr_i32 s77, s14, 31
	s_mov_b64 s[56:57], 0
	v_cmp_ne_u32_e64 s[0:1], 1, v2
	s_branch .LBB16_4
.LBB16_2:                               ;   in Loop: Header=BB16_4 Depth=1
	s_or_b64 exec, exec, s[58:59]
.LBB16_3:                               ;   in Loop: Header=BB16_4 Depth=1
	v_mul_lo_u32 v4, v21, s35
	v_mul_lo_u32 v6, s36, v20
	v_mov_b32_e32 v7, s53
	v_ashrrev_i32_e32 v5, 31, v4
	v_lshlrev_b64 v[4:5], 3, v[4:5]
	v_add_co_u32_e32 v8, vcc, s52, v4
	v_addc_co_u32_e32 v9, vcc, v7, v5, vcc
	v_ashrrev_i32_e32 v7, 31, v6
	v_lshlrev_b64 v[4:5], 3, v[6:7]
	v_mul_lo_u32 v6, s37, v19
	v_add_co_u32_e32 v8, vcc, v8, v4
	v_addc_co_u32_e32 v9, vcc, v9, v5, vcc
	v_ashrrev_i32_e32 v7, 31, v6
	v_lshlrev_b64 v[4:5], 3, v[6:7]
	v_mul_lo_u32 v6, s38, v18
	;; [unrolled: 5-line block ×3, first 2 shown]
	v_add_co_u32_e32 v8, vcc, v8, v4
	v_addc_co_u32_e32 v9, vcc, v9, v5, vcc
	v_ashrrev_i32_e32 v7, 31, v6
	v_add_co_u32_e32 v0, vcc, s66, v0
	v_lshlrev_b64 v[4:5], 3, v[6:7]
	v_addc_co_u32_e32 v1, vcc, 0, v1, vcc
	v_cmp_le_i64_e32 vcc, s[40:41], v[0:1]
	v_add_co_u32_e64 v4, s[2:3], v8, v4
	v_addc_co_u32_e64 v5, s[2:3], v9, v5, s[2:3]
	s_or_b64 s[56:57], vcc, s[56:57]
	global_store_dwordx2 v[4:5], v[2:3], off
	s_andn2_b64 exec, exec, s[56:57]
	s_cbranch_execz .LBB16_19
.LBB16_4:                               ; =>This Loop Header: Depth=1
                                        ;     Child Loop BB16_7 Depth 2
                                        ;       Child Loop BB16_10 Depth 3
                                        ;         Child Loop BB16_13 Depth 4
                                        ;           Child Loop BB16_16 Depth 5
	v_sub_u32_e32 v2, 0, v0
	v_max_i32_e32 v2, v0, v2
	v_mul_hi_u32 v3, v2, v10
	v_ashrrev_i32_e32 v5, 31, v0
	v_xor_b32_e32 v5, s68, v5
	v_mul_lo_u32 v4, v3, s65
	v_add_u32_e32 v6, 1, v3
	v_sub_u32_e32 v2, v2, v4
	v_cmp_le_u32_e32 vcc, s65, v2
	v_subrev_u32_e32 v4, s65, v2
	v_cndmask_b32_e32 v3, v3, v6, vcc
	v_cndmask_b32_e32 v2, v2, v4, vcc
	v_add_u32_e32 v4, 1, v3
	v_cmp_le_u32_e32 vcc, s65, v2
	v_cndmask_b32_e32 v2, v3, v4, vcc
	v_xor_b32_e32 v2, v2, v5
	v_sub_u32_e32 v2, v2, v5
	v_sub_u32_e32 v3, 0, v2
	v_max_i32_e32 v3, v2, v3
	v_mul_hi_u32 v4, v3, v11
	v_ashrrev_i32_e32 v6, 31, v2
	v_xor_b32_e32 v6, s70, v6
	v_mul_lo_u32 v5, v4, s67
	v_add_u32_e32 v7, 1, v4
	v_sub_u32_e32 v3, v3, v5
	v_cmp_le_u32_e32 vcc, s67, v3
	v_subrev_u32_e32 v5, s67, v3
	v_cndmask_b32_e32 v4, v4, v7, vcc
	v_cndmask_b32_e32 v3, v3, v5, vcc
	v_add_u32_e32 v5, 1, v4
	v_cmp_le_u32_e32 vcc, s67, v3
	v_cndmask_b32_e32 v3, v4, v5, vcc
	v_xor_b32_e32 v3, v3, v6
	v_sub_u32_e32 v3, v3, v6
	v_sub_u32_e32 v4, 0, v3
	v_max_i32_e32 v4, v3, v4
	v_mul_hi_u32 v5, v4, v12
	v_ashrrev_i32_e32 v8, 31, v3
	v_xor_b32_e32 v8, s72, v8
	v_mul_lo_u32 v6, v2, s34
	v_mul_lo_u32 v7, v5, s69
	v_add_u32_e32 v9, 1, v5
	v_sub_u32_e32 v17, v0, v6
	v_sub_u32_e32 v4, v4, v7
	v_cmp_le_u32_e32 vcc, s69, v4
	v_subrev_u32_e32 v7, s69, v4
	v_cndmask_b32_e32 v5, v5, v9, vcc
	v_cndmask_b32_e32 v4, v4, v7, vcc
	v_add_u32_e32 v7, 1, v5
	v_cmp_le_u32_e32 vcc, s69, v4
	v_cndmask_b32_e32 v4, v5, v7, vcc
	v_xor_b32_e32 v4, v4, v8
	v_sub_u32_e32 v4, v4, v8
	v_sub_u32_e32 v5, 0, v4
	v_max_i32_e32 v5, v4, v5
	v_mul_hi_u32 v7, v5, v13
	v_ashrrev_i32_e32 v18, 31, v4
	v_xor_b32_e32 v18, s20, v18
	v_mul_lo_u32 v6, v3, s23
	v_mul_lo_u32 v8, v7, s33
	v_mul_lo_u32 v9, v4, s22
	v_sub_u32_e32 v5, v5, v8
	v_add_u32_e32 v8, 1, v7
	v_cmp_le_u32_e32 vcc, s33, v5
	v_cndmask_b32_e32 v7, v7, v8, vcc
	v_subrev_u32_e32 v8, s33, v5
	v_cndmask_b32_e32 v5, v5, v8, vcc
	v_add_u32_e32 v8, 1, v7
	v_cmp_le_u32_e32 vcc, s33, v5
	v_cndmask_b32_e32 v5, v7, v8, vcc
	v_xor_b32_e32 v5, v5, v18
	v_sub_u32_e32 v21, v5, v18
	v_mul_lo_u32 v5, v21, s21
	v_sub_u32_e32 v18, v2, v6
	v_sub_u32_e32 v19, v3, v9
	s_and_b64 vcc, exec, s[0:1]
	v_sub_u32_e32 v20, v4, v5
	s_cbranch_vccnz .LBB16_18
; %bb.5:                                ;   in Loop: Header=BB16_4 Depth=1
	v_mul_lo_u32 v22, v20, s31
	v_mul_lo_u32 v6, s50, v21
	v_mov_b32_e32 v5, s55
	v_add_u32_e32 v23, s16, v18
	v_mul_lo_u32 v2, s64, v22
	v_ashrrev_i32_e32 v7, 31, v6
	v_add_u32_e32 v24, s15, v19
	v_add_u32_e32 v25, s31, v22
	v_ashrrev_i32_e32 v3, 31, v2
	v_lshlrev_b64 v[2:3], 3, v[2:3]
	s_mov_b64 s[58:59], 0
	v_add_co_u32_e32 v4, vcc, s54, v2
	v_addc_co_u32_e32 v5, vcc, v5, v3, vcc
	v_lshlrev_b64 v[2:3], 3, v[6:7]
	v_mov_b32_e32 v6, s43
	v_add_co_u32_e32 v26, vcc, s42, v2
	v_addc_co_u32_e32 v27, vcc, v6, v3, vcc
	v_mov_b32_e32 v2, 0
	v_mov_b32_e32 v3, 0
	s_branch .LBB16_7
.LBB16_6:                               ;   in Loop: Header=BB16_7 Depth=2
	v_add_u32_e32 v22, 1, v22
	v_cmp_ge_i32_e32 vcc, v22, v25
	s_or_b64 s[58:59], vcc, s[58:59]
	s_andn2_b64 exec, exec, s[58:59]
	s_cbranch_execz .LBB16_2
.LBB16_7:                               ;   Parent Loop BB16_4 Depth=1
                                        ; =>  This Loop Header: Depth=2
                                        ;       Child Loop BB16_10 Depth 3
                                        ;         Child Loop BB16_13 Depth 4
                                        ;           Child Loop BB16_16 Depth 5
	s_andn2_b64 vcc, exec, s[44:45]
	s_cbranch_vccnz .LBB16_6
; %bb.8:                                ;   in Loop: Header=BB16_7 Depth=2
	v_mul_lo_u32 v6, s51, v22
	s_mov_b32 s78, 0
	v_ashrrev_i32_e32 v7, 31, v6
	v_lshlrev_b64 v[6:7], 3, v[6:7]
	v_add_co_u32_e32 v28, vcc, v26, v6
	v_addc_co_u32_e32 v29, vcc, v27, v7, vcc
	s_branch .LBB16_10
.LBB16_9:                               ;   in Loop: Header=BB16_10 Depth=3
	s_add_i32 s78, s78, 1
	s_cmp_eq_u32 s78, s28
	s_cbranch_scc1 .LBB16_6
.LBB16_10:                              ;   Parent Loop BB16_4 Depth=1
                                        ;     Parent Loop BB16_7 Depth=2
                                        ; =>    This Loop Header: Depth=3
                                        ;         Child Loop BB16_13 Depth 4
                                        ;           Child Loop BB16_16 Depth 5
	s_andn2_b64 vcc, exec, s[46:47]
	s_cbranch_vccnz .LBB16_9
; %bb.11:                               ;   in Loop: Header=BB16_10 Depth=3
	s_mul_i32 s2, s18, s78
	v_subrev_u32_e32 v6, s2, v24
	v_sub_u32_e32 v7, 0, v6
	v_max_i32_e32 v7, v6, v7
	v_mul_hi_u32 v8, v7, v14
	v_ashrrev_i32_e32 v30, 31, v6
	v_xor_b32_e32 v30, s75, v30
	s_mov_b32 s79, 0
	v_mul_lo_u32 v9, v8, s71
	v_add_u32_e32 v31, 1, v8
	v_sub_u32_e32 v7, v7, v9
	v_cmp_le_u32_e32 vcc, s71, v7
	v_subrev_u32_e32 v9, s71, v7
	v_cndmask_b32_e32 v8, v8, v31, vcc
	v_cndmask_b32_e32 v7, v7, v9, vcc
	v_add_u32_e32 v9, 1, v8
	v_cmp_le_u32_e32 vcc, s71, v7
	v_cndmask_b32_e32 v7, v8, v9, vcc
	v_xor_b32_e32 v7, v7, v30
	v_sub_u32_e32 v7, v7, v30
	v_mul_lo_u32 v8, v7, s12
	v_mul_lo_u32 v30, v7, s26
	v_cmp_lt_i32_e64 s[2:3], -1, v7
	v_cmp_gt_i32_e64 s[4:5], s25, v7
	v_cmp_eq_u32_e64 s[6:7], v8, v6
	s_branch .LBB16_13
.LBB16_12:                              ;   in Loop: Header=BB16_13 Depth=4
	s_add_i32 s79, s79, 1
	s_cmp_eq_u32 s79, s29
	s_cbranch_scc1 .LBB16_9
.LBB16_13:                              ;   Parent Loop BB16_4 Depth=1
                                        ;     Parent Loop BB16_7 Depth=2
                                        ;       Parent Loop BB16_10 Depth=3
                                        ; =>      This Loop Header: Depth=4
                                        ;           Child Loop BB16_16 Depth 5
	s_andn2_b64 vcc, exec, s[48:49]
	s_cbranch_vccnz .LBB16_12
; %bb.14:                               ;   in Loop: Header=BB16_13 Depth=4
	s_mul_i32 s8, s19, s79
	v_subrev_u32_e32 v6, s8, v23
	v_sub_u32_e32 v7, 0, v6
	v_max_i32_e32 v7, v6, v7
	v_mul_hi_u32 v8, v7, v15
	v_ashrrev_i32_e32 v31, 31, v6
	v_xor_b32_e32 v31, s76, v31
	s_mov_b32 s80, s30
	v_mul_lo_u32 v9, v8, s73
	v_add_u32_e32 v32, 1, v8
	v_sub_u32_e32 v7, v7, v9
	v_cmp_le_u32_e32 vcc, s73, v7
	v_subrev_u32_e32 v9, s73, v7
	v_cndmask_b32_e32 v8, v8, v32, vcc
	v_cndmask_b32_e32 v7, v7, v9, vcc
	v_add_u32_e32 v9, 1, v8
	v_cmp_le_u32_e32 vcc, s73, v7
	v_cndmask_b32_e32 v7, v8, v9, vcc
	v_xor_b32_e32 v7, v7, v31
	v_sub_u32_e32 v7, v7, v31
	v_mul_lo_u32 v8, v7, s13
	v_cmp_lt_i32_e32 vcc, -1, v7
	v_cmp_gt_i32_e64 s[8:9], s26, v7
	v_add_u32_e32 v7, v7, v30
	v_mul_lo_u32 v31, v7, s27
	v_cmp_eq_u32_e64 s[10:11], v8, v6
	s_and_b64 s[60:61], s[6:7], s[10:11]
	v_add_u32_e32 v32, s17, v17
	s_branch .LBB16_16
.LBB16_15:                              ;   in Loop: Header=BB16_16 Depth=5
	s_or_b64 exec, exec, s[62:63]
	s_waitcnt vmcnt(0)
	v_fma_f64 v[6:7], v[6:7], v[8:9], v[2:3]
	v_mul_lo_u32 v8, v33, s14
	v_add_co_u32_e64 v4, s[10:11], 8, v4
	v_addc_co_u32_e64 v5, s[10:11], 0, v5, s[10:11]
	v_cmp_eq_u32_e64 s[10:11], v32, v8
	s_and_b64 s[10:11], s[60:61], s[10:11]
	s_add_i32 s80, s80, -1
	v_cndmask_b32_e64 v3, v3, v7, s[10:11]
	v_cndmask_b32_e64 v2, v2, v6, s[10:11]
	s_cmp_eq_u32 s80, 0
	v_subrev_u32_e32 v32, s24, v32
	s_cbranch_scc1 .LBB16_12
.LBB16_16:                              ;   Parent Loop BB16_4 Depth=1
                                        ;     Parent Loop BB16_7 Depth=2
                                        ;       Parent Loop BB16_10 Depth=3
                                        ;         Parent Loop BB16_13 Depth=4
                                        ; =>        This Inner Loop Header: Depth=5
	global_load_dwordx2 v[6:7], v[4:5], off
	v_sub_u32_e32 v8, 0, v32
	v_max_i32_e32 v8, v32, v8
	v_mul_hi_u32 v9, v8, v16
	v_ashrrev_i32_e32 v34, 31, v32
	v_xor_b32_e32 v34, s77, v34
	v_mul_lo_u32 v33, v9, s74
	v_sub_u32_e32 v8, v8, v33
	v_add_u32_e32 v33, 1, v9
	v_cmp_le_u32_e64 s[10:11], s74, v8
	v_cndmask_b32_e64 v9, v9, v33, s[10:11]
	v_subrev_u32_e32 v33, s74, v8
	v_cndmask_b32_e64 v8, v8, v33, s[10:11]
	v_add_u32_e32 v33, 1, v9
	v_cmp_le_u32_e64 s[10:11], s74, v8
	v_cndmask_b32_e64 v8, v9, v33, s[10:11]
	v_xor_b32_e32 v8, v8, v34
	v_sub_u32_e32 v33, v8, v34
	v_cmp_lt_i32_e64 s[10:11], -1, v33
	s_and_b64 s[10:11], s[10:11], vcc
	s_and_b64 s[62:63], s[10:11], s[2:3]
	v_cmp_gt_i32_e64 s[10:11], s27, v33
	s_and_b64 s[10:11], s[10:11], s[62:63]
	s_and_b64 s[10:11], s[10:11], s[8:9]
	v_mov_b32_e32 v8, 0
	v_mov_b32_e32 v9, 0
	s_and_b64 s[10:11], s[10:11], s[4:5]
	s_and_saveexec_b64 s[62:63], s[10:11]
	s_cbranch_execz .LBB16_15
; %bb.17:                               ;   in Loop: Header=BB16_16 Depth=5
	v_add_u32_e32 v8, v33, v31
	v_ashrrev_i32_e32 v9, 31, v8
	v_lshlrev_b64 v[8:9], 3, v[8:9]
	v_add_co_u32_e64 v8, s[10:11], v28, v8
	v_addc_co_u32_e64 v9, s[10:11], v29, v9, s[10:11]
	global_load_dwordx2 v[8:9], v[8:9], off
	s_branch .LBB16_15
.LBB16_18:                              ;   in Loop: Header=BB16_4 Depth=1
	v_mov_b32_e32 v2, 0
	v_mov_b32_e32 v3, 0
	s_branch .LBB16_3
.LBB16_19:
	s_endpgm
	.section	.rodata,"a",@progbits
	.p2align	6, 0x0
	.amdhsa_kernel _ZN2at6native12_GLOBAL__N_143conv_depthwise3d_cuda_backward_input_kernelIddLin1ELin1ELin1ELin1ELin1ELin1ELin1ELin1ELin1EEEvN5torch10headeronly6detail27GenericPackedTensorAccessorINS5_14TensorAccessorIN3c108ArrayRefIlEEKT_Lm4ENS4_16DefaultPtrTraitsEiEENS_6detail16IndexBoundsCheckILm5EiEESC_Lm5ESD_iEENS6_INS7_ISA_SB_Lm4ESD_iEESH_SB_Lm5ESD_iEESI_iiiiiiiii
		.amdhsa_group_segment_fixed_size 0
		.amdhsa_private_segment_fixed_size 0
		.amdhsa_kernarg_size 440
		.amdhsa_user_sgpr_count 6
		.amdhsa_user_sgpr_private_segment_buffer 1
		.amdhsa_user_sgpr_dispatch_ptr 0
		.amdhsa_user_sgpr_queue_ptr 0
		.amdhsa_user_sgpr_kernarg_segment_ptr 1
		.amdhsa_user_sgpr_dispatch_id 0
		.amdhsa_user_sgpr_flat_scratch_init 0
		.amdhsa_user_sgpr_private_segment_size 0
		.amdhsa_uses_dynamic_stack 0
		.amdhsa_system_sgpr_private_segment_wavefront_offset 0
		.amdhsa_system_sgpr_workgroup_id_x 1
		.amdhsa_system_sgpr_workgroup_id_y 0
		.amdhsa_system_sgpr_workgroup_id_z 0
		.amdhsa_system_sgpr_workgroup_info 0
		.amdhsa_system_vgpr_workitem_id 0
		.amdhsa_next_free_vgpr 35
		.amdhsa_next_free_sgpr 81
		.amdhsa_reserve_vcc 1
		.amdhsa_reserve_flat_scratch 0
		.amdhsa_float_round_mode_32 0
		.amdhsa_float_round_mode_16_64 0
		.amdhsa_float_denorm_mode_32 3
		.amdhsa_float_denorm_mode_16_64 3
		.amdhsa_dx10_clamp 1
		.amdhsa_ieee_mode 1
		.amdhsa_fp16_overflow 0
		.amdhsa_exception_fp_ieee_invalid_op 0
		.amdhsa_exception_fp_denorm_src 0
		.amdhsa_exception_fp_ieee_div_zero 0
		.amdhsa_exception_fp_ieee_overflow 0
		.amdhsa_exception_fp_ieee_underflow 0
		.amdhsa_exception_fp_ieee_inexact 0
		.amdhsa_exception_int_div_zero 0
	.end_amdhsa_kernel
	.section	.text._ZN2at6native12_GLOBAL__N_143conv_depthwise3d_cuda_backward_input_kernelIddLin1ELin1ELin1ELin1ELin1ELin1ELin1ELin1ELin1EEEvN5torch10headeronly6detail27GenericPackedTensorAccessorINS5_14TensorAccessorIN3c108ArrayRefIlEEKT_Lm4ENS4_16DefaultPtrTraitsEiEENS_6detail16IndexBoundsCheckILm5EiEESC_Lm5ESD_iEENS6_INS7_ISA_SB_Lm4ESD_iEESH_SB_Lm5ESD_iEESI_iiiiiiiii,"axG",@progbits,_ZN2at6native12_GLOBAL__N_143conv_depthwise3d_cuda_backward_input_kernelIddLin1ELin1ELin1ELin1ELin1ELin1ELin1ELin1ELin1EEEvN5torch10headeronly6detail27GenericPackedTensorAccessorINS5_14TensorAccessorIN3c108ArrayRefIlEEKT_Lm4ENS4_16DefaultPtrTraitsEiEENS_6detail16IndexBoundsCheckILm5EiEESC_Lm5ESD_iEENS6_INS7_ISA_SB_Lm4ESD_iEESH_SB_Lm5ESD_iEESI_iiiiiiiii,comdat
.Lfunc_end16:
	.size	_ZN2at6native12_GLOBAL__N_143conv_depthwise3d_cuda_backward_input_kernelIddLin1ELin1ELin1ELin1ELin1ELin1ELin1ELin1ELin1EEEvN5torch10headeronly6detail27GenericPackedTensorAccessorINS5_14TensorAccessorIN3c108ArrayRefIlEEKT_Lm4ENS4_16DefaultPtrTraitsEiEENS_6detail16IndexBoundsCheckILm5EiEESC_Lm5ESD_iEENS6_INS7_ISA_SB_Lm4ESD_iEESH_SB_Lm5ESD_iEESI_iiiiiiiii, .Lfunc_end16-_ZN2at6native12_GLOBAL__N_143conv_depthwise3d_cuda_backward_input_kernelIddLin1ELin1ELin1ELin1ELin1ELin1ELin1ELin1ELin1EEEvN5torch10headeronly6detail27GenericPackedTensorAccessorINS5_14TensorAccessorIN3c108ArrayRefIlEEKT_Lm4ENS4_16DefaultPtrTraitsEiEENS_6detail16IndexBoundsCheckILm5EiEESC_Lm5ESD_iEENS6_INS7_ISA_SB_Lm4ESD_iEESH_SB_Lm5ESD_iEESI_iiiiiiiii
                                        ; -- End function
	.set _ZN2at6native12_GLOBAL__N_143conv_depthwise3d_cuda_backward_input_kernelIddLin1ELin1ELin1ELin1ELin1ELin1ELin1ELin1ELin1EEEvN5torch10headeronly6detail27GenericPackedTensorAccessorINS5_14TensorAccessorIN3c108ArrayRefIlEEKT_Lm4ENS4_16DefaultPtrTraitsEiEENS_6detail16IndexBoundsCheckILm5EiEESC_Lm5ESD_iEENS6_INS7_ISA_SB_Lm4ESD_iEESH_SB_Lm5ESD_iEESI_iiiiiiiii.num_vgpr, 35
	.set _ZN2at6native12_GLOBAL__N_143conv_depthwise3d_cuda_backward_input_kernelIddLin1ELin1ELin1ELin1ELin1ELin1ELin1ELin1ELin1EEEvN5torch10headeronly6detail27GenericPackedTensorAccessorINS5_14TensorAccessorIN3c108ArrayRefIlEEKT_Lm4ENS4_16DefaultPtrTraitsEiEENS_6detail16IndexBoundsCheckILm5EiEESC_Lm5ESD_iEENS6_INS7_ISA_SB_Lm4ESD_iEESH_SB_Lm5ESD_iEESI_iiiiiiiii.num_agpr, 0
	.set _ZN2at6native12_GLOBAL__N_143conv_depthwise3d_cuda_backward_input_kernelIddLin1ELin1ELin1ELin1ELin1ELin1ELin1ELin1ELin1EEEvN5torch10headeronly6detail27GenericPackedTensorAccessorINS5_14TensorAccessorIN3c108ArrayRefIlEEKT_Lm4ENS4_16DefaultPtrTraitsEiEENS_6detail16IndexBoundsCheckILm5EiEESC_Lm5ESD_iEENS6_INS7_ISA_SB_Lm4ESD_iEESH_SB_Lm5ESD_iEESI_iiiiiiiii.numbered_sgpr, 81
	.set _ZN2at6native12_GLOBAL__N_143conv_depthwise3d_cuda_backward_input_kernelIddLin1ELin1ELin1ELin1ELin1ELin1ELin1ELin1ELin1EEEvN5torch10headeronly6detail27GenericPackedTensorAccessorINS5_14TensorAccessorIN3c108ArrayRefIlEEKT_Lm4ENS4_16DefaultPtrTraitsEiEENS_6detail16IndexBoundsCheckILm5EiEESC_Lm5ESD_iEENS6_INS7_ISA_SB_Lm4ESD_iEESH_SB_Lm5ESD_iEESI_iiiiiiiii.num_named_barrier, 0
	.set _ZN2at6native12_GLOBAL__N_143conv_depthwise3d_cuda_backward_input_kernelIddLin1ELin1ELin1ELin1ELin1ELin1ELin1ELin1ELin1EEEvN5torch10headeronly6detail27GenericPackedTensorAccessorINS5_14TensorAccessorIN3c108ArrayRefIlEEKT_Lm4ENS4_16DefaultPtrTraitsEiEENS_6detail16IndexBoundsCheckILm5EiEESC_Lm5ESD_iEENS6_INS7_ISA_SB_Lm4ESD_iEESH_SB_Lm5ESD_iEESI_iiiiiiiii.private_seg_size, 0
	.set _ZN2at6native12_GLOBAL__N_143conv_depthwise3d_cuda_backward_input_kernelIddLin1ELin1ELin1ELin1ELin1ELin1ELin1ELin1ELin1EEEvN5torch10headeronly6detail27GenericPackedTensorAccessorINS5_14TensorAccessorIN3c108ArrayRefIlEEKT_Lm4ENS4_16DefaultPtrTraitsEiEENS_6detail16IndexBoundsCheckILm5EiEESC_Lm5ESD_iEENS6_INS7_ISA_SB_Lm4ESD_iEESH_SB_Lm5ESD_iEESI_iiiiiiiii.uses_vcc, 1
	.set _ZN2at6native12_GLOBAL__N_143conv_depthwise3d_cuda_backward_input_kernelIddLin1ELin1ELin1ELin1ELin1ELin1ELin1ELin1ELin1EEEvN5torch10headeronly6detail27GenericPackedTensorAccessorINS5_14TensorAccessorIN3c108ArrayRefIlEEKT_Lm4ENS4_16DefaultPtrTraitsEiEENS_6detail16IndexBoundsCheckILm5EiEESC_Lm5ESD_iEENS6_INS7_ISA_SB_Lm4ESD_iEESH_SB_Lm5ESD_iEESI_iiiiiiiii.uses_flat_scratch, 0
	.set _ZN2at6native12_GLOBAL__N_143conv_depthwise3d_cuda_backward_input_kernelIddLin1ELin1ELin1ELin1ELin1ELin1ELin1ELin1ELin1EEEvN5torch10headeronly6detail27GenericPackedTensorAccessorINS5_14TensorAccessorIN3c108ArrayRefIlEEKT_Lm4ENS4_16DefaultPtrTraitsEiEENS_6detail16IndexBoundsCheckILm5EiEESC_Lm5ESD_iEENS6_INS7_ISA_SB_Lm4ESD_iEESH_SB_Lm5ESD_iEESI_iiiiiiiii.has_dyn_sized_stack, 0
	.set _ZN2at6native12_GLOBAL__N_143conv_depthwise3d_cuda_backward_input_kernelIddLin1ELin1ELin1ELin1ELin1ELin1ELin1ELin1ELin1EEEvN5torch10headeronly6detail27GenericPackedTensorAccessorINS5_14TensorAccessorIN3c108ArrayRefIlEEKT_Lm4ENS4_16DefaultPtrTraitsEiEENS_6detail16IndexBoundsCheckILm5EiEESC_Lm5ESD_iEENS6_INS7_ISA_SB_Lm4ESD_iEESH_SB_Lm5ESD_iEESI_iiiiiiiii.has_recursion, 0
	.set _ZN2at6native12_GLOBAL__N_143conv_depthwise3d_cuda_backward_input_kernelIddLin1ELin1ELin1ELin1ELin1ELin1ELin1ELin1ELin1EEEvN5torch10headeronly6detail27GenericPackedTensorAccessorINS5_14TensorAccessorIN3c108ArrayRefIlEEKT_Lm4ENS4_16DefaultPtrTraitsEiEENS_6detail16IndexBoundsCheckILm5EiEESC_Lm5ESD_iEENS6_INS7_ISA_SB_Lm4ESD_iEESH_SB_Lm5ESD_iEESI_iiiiiiiii.has_indirect_call, 0
	.section	.AMDGPU.csdata,"",@progbits
; Kernel info:
; codeLenInByte = 2012
; TotalNumSgprs: 85
; NumVgprs: 35
; ScratchSize: 0
; MemoryBound: 0
; FloatMode: 240
; IeeeMode: 1
; LDSByteSize: 0 bytes/workgroup (compile time only)
; SGPRBlocks: 10
; VGPRBlocks: 8
; NumSGPRsForWavesPerEU: 85
; NumVGPRsForWavesPerEU: 35
; Occupancy: 7
; WaveLimiterHint : 0
; COMPUTE_PGM_RSRC2:SCRATCH_EN: 0
; COMPUTE_PGM_RSRC2:USER_SGPR: 6
; COMPUTE_PGM_RSRC2:TRAP_HANDLER: 0
; COMPUTE_PGM_RSRC2:TGID_X_EN: 1
; COMPUTE_PGM_RSRC2:TGID_Y_EN: 0
; COMPUTE_PGM_RSRC2:TGID_Z_EN: 0
; COMPUTE_PGM_RSRC2:TIDIG_COMP_CNT: 0
	.section	.text._ZN2at6native12_GLOBAL__N_143conv_depthwise3d_cuda_backward_input_kernelIffLi3ELi3ELi3ELi1ELi1ELi1ELi1ELi1ELi1EEEvN5torch10headeronly6detail27GenericPackedTensorAccessorINS5_14TensorAccessorIN3c108ArrayRefIlEEKT_Lm4ENS4_16DefaultPtrTraitsEiEENS_6detail16IndexBoundsCheckILm5EiEESC_Lm5ESD_iEENS6_INS7_ISA_SB_Lm4ESD_iEESH_SB_Lm5ESD_iEESI_iiiiiiiii,"axG",@progbits,_ZN2at6native12_GLOBAL__N_143conv_depthwise3d_cuda_backward_input_kernelIffLi3ELi3ELi3ELi1ELi1ELi1ELi1ELi1ELi1EEEvN5torch10headeronly6detail27GenericPackedTensorAccessorINS5_14TensorAccessorIN3c108ArrayRefIlEEKT_Lm4ENS4_16DefaultPtrTraitsEiEENS_6detail16IndexBoundsCheckILm5EiEESC_Lm5ESD_iEENS6_INS7_ISA_SB_Lm4ESD_iEESH_SB_Lm5ESD_iEESI_iiiiiiiii,comdat
	.globl	_ZN2at6native12_GLOBAL__N_143conv_depthwise3d_cuda_backward_input_kernelIffLi3ELi3ELi3ELi1ELi1ELi1ELi1ELi1ELi1EEEvN5torch10headeronly6detail27GenericPackedTensorAccessorINS5_14TensorAccessorIN3c108ArrayRefIlEEKT_Lm4ENS4_16DefaultPtrTraitsEiEENS_6detail16IndexBoundsCheckILm5EiEESC_Lm5ESD_iEENS6_INS7_ISA_SB_Lm4ESD_iEESH_SB_Lm5ESD_iEESI_iiiiiiiii ; -- Begin function _ZN2at6native12_GLOBAL__N_143conv_depthwise3d_cuda_backward_input_kernelIffLi3ELi3ELi3ELi1ELi1ELi1ELi1ELi1ELi1EEEvN5torch10headeronly6detail27GenericPackedTensorAccessorINS5_14TensorAccessorIN3c108ArrayRefIlEEKT_Lm4ENS4_16DefaultPtrTraitsEiEENS_6detail16IndexBoundsCheckILm5EiEESC_Lm5ESD_iEENS6_INS7_ISA_SB_Lm4ESD_iEESH_SB_Lm5ESD_iEESI_iiiiiiiii
	.p2align	8
	.type	_ZN2at6native12_GLOBAL__N_143conv_depthwise3d_cuda_backward_input_kernelIffLi3ELi3ELi3ELi1ELi1ELi1ELi1ELi1ELi1EEEvN5torch10headeronly6detail27GenericPackedTensorAccessorINS5_14TensorAccessorIN3c108ArrayRefIlEEKT_Lm4ENS4_16DefaultPtrTraitsEiEENS_6detail16IndexBoundsCheckILm5EiEESC_Lm5ESD_iEENS6_INS7_ISA_SB_Lm4ESD_iEESH_SB_Lm5ESD_iEESI_iiiiiiiii,@function
_ZN2at6native12_GLOBAL__N_143conv_depthwise3d_cuda_backward_input_kernelIffLi3ELi3ELi3ELi1ELi1ELi1ELi1ELi1ELi1EEEvN5torch10headeronly6detail27GenericPackedTensorAccessorINS5_14TensorAccessorIN3c108ArrayRefIlEEKT_Lm4ENS4_16DefaultPtrTraitsEiEENS_6detail16IndexBoundsCheckILm5EiEESC_Lm5ESD_iEENS6_INS7_ISA_SB_Lm4ESD_iEESH_SB_Lm5ESD_iEESI_iiiiiiiii: ; @_ZN2at6native12_GLOBAL__N_143conv_depthwise3d_cuda_backward_input_kernelIffLi3ELi3ELi3ELi1ELi1ELi1ELi1ELi1ELi1EEEvN5torch10headeronly6detail27GenericPackedTensorAccessorINS5_14TensorAccessorIN3c108ArrayRefIlEEKT_Lm4ENS4_16DefaultPtrTraitsEiEENS_6detail16IndexBoundsCheckILm5EiEESC_Lm5ESD_iEENS6_INS7_ISA_SB_Lm4ESD_iEESH_SB_Lm5ESD_iEESI_iiiiiiiii
; %bb.0:
	s_load_dwordx4 s[36:39], s[4:5], 0x38
	s_load_dwordx2 s[34:35], s[4:5], 0x48
	s_mov_b64 s[98:99], s[2:3]
	s_mov_b64 s[96:97], s[0:1]
	s_add_u32 s96, s96, s7
	s_addc_u32 s97, s97, 0
	s_waitcnt lgkmcnt(0)
	s_abs_i32 s33, s37
	v_cvt_f32_u32_e32 v2, s33
	s_load_dword s2, s[4:5], 0xc4
	s_add_u32 s0, s4, 0xb8
	v_mov_b32_e32 v1, 0
	v_rcp_iflag_f32_e32 v2, v2
	v_mov_b32_e32 v3, s6
	s_addc_u32 s1, s5, 0
	s_waitcnt lgkmcnt(0)
	s_and_b32 s2, s2, 0xffff
	v_mul_f32_e32 v2, 0x4f7ffffe, v2
	v_mad_u64_u32 v[9:10], s[6:7], s2, v3, v[0:1]
	v_cvt_u32_f32_e32 v0, v2
	s_mul_i32 s6, s35, s36
	s_ashr_i32 s7, s6, 31
                                        ; implicit-def: $vgpr63 : SGPR spill to VGPR lane
	v_writelane_b32 v63, s6, 0
	v_cmp_gt_i64_e32 vcc, s[6:7], v[9:10]
	v_writelane_b32 v63, s7, 1
	v_readfirstlane_b32 s3, v0
	s_and_saveexec_b64 s[6:7], vcc
	s_cbranch_execz .LBB17_62
; %bb.1:
	s_load_dwordx4 s[40:43], s[4:5], 0xc
	s_load_dwordx2 s[6:7], s[4:5], 0x0
	s_sub_i32 s8, 0, s33
	s_mul_i32 s9, s8, s3
	s_mul_hi_u32 s9, s3, s9
	s_add_i32 s3, s3, s9
	s_waitcnt lgkmcnt(0)
	v_writelane_b32 v63, s6, 2
	v_writelane_b32 v63, s7, 3
	s_abs_i32 s7, s40
	s_mul_hi_u32 s3, s7, s3
	s_mul_i32 s9, s3, s33
	s_ashr_i32 s10, s37, 31
	s_ashr_i32 s6, s40, 31
	s_sub_i32 s7, s7, s9
	v_writelane_b32 v63, s10, 4
	s_xor_b32 s6, s6, s10
	s_add_i32 s9, s3, 1
	s_sub_i32 s10, s7, s33
	s_cmp_ge_u32 s7, s33
	s_cselect_b32 s3, s9, s3
	s_cselect_b32 s7, s10, s7
	s_add_i32 s9, s3, 1
	s_cmp_ge_u32 s7, s33
	s_cselect_b32 s3, s9, s3
	s_xor_b32 s3, s3, s6
	s_sub_i32 s40, s3, s6
	s_cmp_gt_i32 s40, 0
	s_cselect_b64 s[6:7], -1, 0
	s_abs_i32 s36, s34
	v_cvt_f32_u32_e32 v1, s36
	s_load_dword s0, s[0:1], 0x0
	s_nop 0
	s_load_dwordx4 s[44:47], s[4:5], 0x9c
	s_load_dword s1, s[4:5], 0x7c
	s_load_dwordx2 s[10:11], s[4:5], 0x60
	s_load_dwordx4 s[48:51], s[4:5], 0x50
	v_rcp_iflag_f32_e32 v1, v1
	s_waitcnt lgkmcnt(0)
	s_mul_i32 s0, s0, s2
	v_writelane_b32 v63, s1, 5
	v_writelane_b32 v63, s10, 6
	v_mul_f32_e32 v1, 0x4f7ffffe, v1
	v_cvt_u32_f32_e32 v1, v1
	v_writelane_b32 v63, s11, 7
	v_writelane_b32 v63, s0, 8
	s_sub_i32 s0, 0, s36
	v_mul_lo_u32 v2, s0, v1
	s_abs_i32 s47, s39
	v_cvt_f32_u32_e32 v3, s47
	s_abs_i32 s60, s38
	v_cvt_f32_u32_e32 v4, s60
	v_mul_hi_u32 v2, v1, v2
	v_rcp_iflag_f32_e32 v3, v3
	s_load_dwordx2 s[56:57], s[4:5], 0x1c
	s_load_dwordx2 s[58:59], s[4:5], 0x30
	v_rcp_iflag_f32_e32 v4, v4
	v_add_u32_e32 v1, v1, v2
	buffer_store_dword v1, off, s[96:99], 0 offset:260 ; 4-byte Folded Spill
	v_mul_f32_e32 v1, 0x4f7ffffe, v3
	v_cvt_u32_f32_e32 v1, v1
	v_mul_f32_e32 v2, 0x4f7ffffe, v4
	v_cvt_u32_f32_e32 v2, v2
	v_mul_lo_u32 v5, s8, v0
	s_ashr_i32 s0, s34, 31
	v_writelane_b32 v63, s0, 9
	s_sub_i32 s0, 0, s47
	v_mul_lo_u32 v3, s0, v1
	s_sub_i32 s0, 0, s60
	v_mul_lo_u32 v4, s0, v2
	v_mul_hi_u32 v5, v0, v5
	v_mul_hi_u32 v3, v1, v3
	s_ashr_i32 s0, s39, 31
	v_mul_hi_u32 v4, v2, v4
	v_add_u32_e32 v0, v0, v5
	buffer_store_dword v0, off, s[96:99], 0 offset:272 ; 4-byte Folded Spill
	v_cndmask_b32_e64 v0, 0, 1, s[6:7]
	v_writelane_b32 v63, s0, 10
	v_cmp_ne_u32_e64 s[0:1], 1, v0
	v_add_u32_e32 v1, v1, v3
	v_writelane_b32 v63, s0, 11
	buffer_store_dword v1, off, s[96:99], 0 offset:264 ; 4-byte Folded Spill
	s_ashr_i32 s61, s38, 31
	v_add_u32_e32 v1, v2, v4
	s_mov_b64 s[62:63], 0
	v_writelane_b32 v63, s1, 12
                                        ; kill: killed $sgpr4 killed $sgpr5
	buffer_store_dword v1, off, s[96:99], 0 offset:268 ; 4-byte Folded Spill
	s_branch .LBB17_4
.LBB17_2:                               ;   in Loop: Header=BB17_4 Depth=1
	s_or_b64 exec, exec, s[88:89]
	buffer_load_dword v9, off, s[96:99], 0 offset:232 ; 4-byte Folded Reload
	buffer_load_dword v10, off, s[96:99], 0 offset:236 ; 4-byte Folded Reload
	;; [unrolled: 1-line block ×7, first 2 shown]
.LBB17_3:                               ;   in Loop: Header=BB17_4 Depth=1
	s_waitcnt vmcnt(1)
	v_mul_lo_u32 v1, v23, s35
	s_waitcnt vmcnt(0)
	v_mul_lo_u32 v3, s48, v57
	s_waitcnt lgkmcnt(0)
	v_mov_b32_e32 v4, s59
	v_readlane_b32 s0, v63, 8
	v_ashrrev_i32_e32 v2, 31, v1
	v_lshlrev_b64 v[1:2], 2, v[1:2]
	v_add_co_u32_e32 v5, vcc, s58, v1
	v_addc_co_u32_e32 v6, vcc, v4, v2, vcc
	v_ashrrev_i32_e32 v4, 31, v3
	v_lshlrev_b64 v[1:2], 2, v[3:4]
	v_mul_lo_u32 v3, s49, v7
	v_add_co_u32_e32 v5, vcc, v5, v1
	v_addc_co_u32_e32 v6, vcc, v6, v2, vcc
	v_ashrrev_i32_e32 v4, 31, v3
	v_lshlrev_b64 v[1:2], 2, v[3:4]
	v_mul_lo_u32 v3, s50, v8
	;; [unrolled: 5-line block ×3, first 2 shown]
	v_add_co_u32_e32 v5, vcc, v5, v1
	v_addc_co_u32_e32 v6, vcc, v6, v2, vcc
	v_ashrrev_i32_e32 v4, 31, v3
	v_add_co_u32_e32 v9, vcc, s0, v9
	v_readlane_b32 s0, v63, 0
	v_lshlrev_b64 v[1:2], 2, v[3:4]
	v_addc_co_u32_e32 v10, vcc, 0, v10, vcc
	v_readlane_b32 s1, v63, 1
	v_cmp_le_i64_e32 vcc, s[0:1], v[9:10]
	v_add_co_u32_e64 v1, s[2:3], v5, v1
	v_addc_co_u32_e64 v2, s[2:3], v6, v2, s[2:3]
	s_or_b64 s[62:63], vcc, s[62:63]
	global_store_dword v[1:2], v0, off
	s_andn2_b64 exec, exec, s[62:63]
	s_cbranch_execz .LBB17_62
.LBB17_4:                               ; =>This Loop Header: Depth=1
                                        ;     Child Loop BB17_7 Depth 2
	buffer_load_dword v1, off, s[96:99], 0 offset:260 ; 4-byte Folded Reload
	v_sub_u32_e32 v0, 0, v9
	v_max_i32_e32 v0, v9, v0
	v_ashrrev_i32_e32 v3, 31, v9
	v_readlane_b32 s0, v63, 9
	v_xor_b32_e32 v3, s0, v3
	v_readlane_b32 s0, v63, 10
	s_waitcnt vmcnt(0)
	v_mul_hi_u32 v1, v0, v1
	v_mul_lo_u32 v2, v1, s36
	v_add_u32_e32 v4, 1, v1
	v_sub_u32_e32 v0, v0, v2
	v_cmp_le_u32_e32 vcc, s36, v0
	v_subrev_u32_e32 v2, s36, v0
	v_cndmask_b32_e32 v1, v1, v4, vcc
	v_cndmask_b32_e32 v0, v0, v2, vcc
	v_add_u32_e32 v2, 1, v1
	v_cmp_le_u32_e32 vcc, s36, v0
	v_cndmask_b32_e32 v0, v1, v2, vcc
	buffer_load_dword v2, off, s[96:99], 0 offset:264 ; 4-byte Folded Reload
	v_xor_b32_e32 v0, v0, v3
	v_sub_u32_e32 v0, v0, v3
	v_sub_u32_e32 v1, 0, v0
	v_max_i32_e32 v1, v0, v1
	v_ashrrev_i32_e32 v4, 31, v0
	v_xor_b32_e32 v4, s0, v4
	v_readlane_b32 s0, v63, 4
	s_waitcnt vmcnt(0)
	v_mul_hi_u32 v2, v1, v2
	v_mul_lo_u32 v3, v2, s47
	v_add_u32_e32 v5, 1, v2
	v_sub_u32_e32 v1, v1, v3
	v_cmp_le_u32_e32 vcc, s47, v1
	v_subrev_u32_e32 v3, s47, v1
	v_cndmask_b32_e32 v2, v2, v5, vcc
	v_cndmask_b32_e32 v1, v1, v3, vcc
	v_add_u32_e32 v3, 1, v2
	v_cmp_le_u32_e32 vcc, s47, v1
	v_cndmask_b32_e32 v1, v2, v3, vcc
	buffer_load_dword v3, off, s[96:99], 0 offset:268 ; 4-byte Folded Reload
	v_xor_b32_e32 v1, v1, v4
	v_sub_u32_e32 v1, v1, v4
	v_sub_u32_e32 v2, 0, v1
	v_max_i32_e32 v2, v1, v2
	v_ashrrev_i32_e32 v6, 31, v1
	v_xor_b32_e32 v6, s61, v6
	v_mul_lo_u32 v4, v0, s34
	v_sub_u32_e32 v11, v9, v4
	v_mul_lo_u32 v4, v1, s39
	s_waitcnt vmcnt(0)
	v_mul_hi_u32 v3, v2, v3
	v_mul_lo_u32 v5, v3, s60
	v_add_u32_e32 v7, 1, v3
	v_sub_u32_e32 v2, v2, v5
	v_cmp_le_u32_e32 vcc, s60, v2
	v_subrev_u32_e32 v5, s60, v2
	v_cndmask_b32_e32 v3, v3, v7, vcc
	v_cndmask_b32_e32 v2, v2, v5, vcc
	v_add_u32_e32 v5, 1, v3
	v_cmp_le_u32_e32 vcc, s60, v2
	v_cndmask_b32_e32 v2, v3, v5, vcc
	buffer_load_dword v5, off, s[96:99], 0 offset:272 ; 4-byte Folded Reload
	v_xor_b32_e32 v2, v2, v6
	v_sub_u32_e32 v2, v2, v6
	v_sub_u32_e32 v3, 0, v2
	v_max_i32_e32 v3, v2, v3
	v_ashrrev_i32_e32 v8, 31, v2
	v_xor_b32_e32 v8, s0, v8
	v_mul_lo_u32 v7, v2, s38
	v_readlane_b32 s0, v63, 11
	v_readlane_b32 s1, v63, 12
	v_sub_u32_e32 v7, v1, v7
	s_waitcnt vmcnt(0)
	v_mul_hi_u32 v5, v3, v5
	v_mul_lo_u32 v6, v5, s33
	v_sub_u32_e32 v3, v3, v6
	v_add_u32_e32 v6, 1, v5
	v_cmp_le_u32_e32 vcc, s33, v3
	v_cndmask_b32_e32 v5, v5, v6, vcc
	v_subrev_u32_e32 v6, s33, v3
	v_cndmask_b32_e32 v3, v3, v6, vcc
	v_add_u32_e32 v6, 1, v5
	v_cmp_le_u32_e32 vcc, s33, v3
	v_cndmask_b32_e32 v3, v5, v6, vcc
	v_xor_b32_e32 v3, v3, v8
	v_sub_u32_e32 v23, v3, v8
	v_mul_lo_u32 v3, v23, s37
	v_sub_u32_e32 v8, v0, v4
	s_and_b64 vcc, exec, s[0:1]
	v_sub_u32_e32 v57, v2, v3
	s_cbranch_vccnz .LBB17_61
; %bb.5:                                ;   in Loop: Header=BB17_4 Depth=1
	v_add_u32_e32 v5, s45, v8
	v_add_u32_e32 v0, s46, v11
	buffer_store_dword v9, off, s[96:99], 0 offset:232 ; 4-byte Folded Spill
	s_nop 0
	buffer_store_dword v10, off, s[96:99], 0 offset:236 ; 4-byte Folded Spill
	buffer_store_dword v7, off, s[96:99], 0 offset:248 ; 4-byte Folded Spill
	v_add_u32_e32 v6, s44, v7
	buffer_store_dword v11, off, s[96:99], 0 offset:240 ; 4-byte Folded Spill
	v_or_b32_e32 v11, v0, v5
	v_or_b32_e32 v1, v11, v6
	v_cmp_lt_i32_e32 vcc, -1, v1
	v_add_u32_e32 v1, -1, v0
	v_or_b32_e32 v13, v1, v5
	v_add_u32_e32 v14, -2, v0
	v_add_u32_e32 v9, -1, v5
	v_or_b32_e32 v2, v13, v6
	v_or_b32_e32 v16, v14, v5
	v_or_b32_e32 v10, v0, v9
	v_cmp_lt_i32_e64 s[2:3], -1, v2
	v_or_b32_e32 v2, v16, v6
	v_or_b32_e32 v12, v1, v9
	v_cmp_lt_i32_e64 s[4:5], -1, v2
	v_or_b32_e32 v2, v10, v6
	v_add_u32_e32 v7, -2, v5
	v_or_b32_e32 v15, v14, v9
	v_cmp_lt_i32_e64 s[6:7], -1, v2
	v_or_b32_e32 v2, v12, v6
	v_cmp_gt_i32_e64 s[24:25], s42, v5
	v_cmp_gt_i32_e64 s[26:27], s43, v0
	;; [unrolled: 1-line block ×4, first 2 shown]
	buffer_store_dword v8, off, s[96:99], 0 offset:244 ; 4-byte Folded Spill
	v_or_b32_e32 v8, v0, v7
	v_cmp_lt_i32_e64 s[8:9], -1, v2
	v_or_b32_e32 v2, v15, v6
	s_and_b64 s[86:87], s[26:27], s[24:25]
	s_and_b64 s[84:85], s[28:29], s[24:25]
	;; [unrolled: 1-line block ×3, first 2 shown]
	v_cmp_gt_i32_e64 s[24:25], s42, v9
	v_cmp_lt_i32_e64 s[10:11], -1, v2
	v_or_b32_e32 v2, v8, v6
	v_or_b32_e32 v17, v1, v7
	s_and_b64 s[52:53], s[26:27], s[24:25]
	s_and_b64 s[0:1], s[28:29], s[24:25]
	;; [unrolled: 1-line block ×3, first 2 shown]
	v_cmp_gt_i32_e64 s[24:25], s42, v7
	v_cmp_lt_i32_e64 s[12:13], -1, v2
	v_or_b32_e32 v2, v17, v6
	v_or_b32_e32 v18, v14, v7
	s_and_b64 s[92:93], s[26:27], s[24:25]
	s_and_b64 s[90:91], s[28:29], s[24:25]
	;; [unrolled: 1-line block ×3, first 2 shown]
	v_cmp_gt_i32_e64 s[24:25], s41, v6
	s_and_b64 s[2:3], s[84:85], s[2:3]
	v_cmp_lt_i32_e64 s[14:15], -1, v2
	v_or_b32_e32 v2, v18, v6
	s_and_b64 s[28:29], s[2:3], s[24:25]
	s_and_b64 s[2:3], s[54:55], s[4:5]
	v_cmp_lt_i32_e64 s[16:17], -1, v2
	v_add_u32_e32 v2, -1, v6
	s_and_b64 s[30:31], s[2:3], s[24:25]
	s_and_b64 s[2:3], s[52:53], s[6:7]
	v_or_b32_e32 v3, v11, v2
	s_and_b64 s[64:65], s[2:3], s[24:25]
	s_and_b64 s[2:3], s[0:1], s[8:9]
	v_cmp_lt_i32_e64 s[18:19], -1, v3
	v_or_b32_e32 v3, v13, v2
	s_and_b64 s[66:67], s[2:3], s[24:25]
	s_and_b64 s[2:3], s[94:95], s[10:11]
	v_cmp_lt_i32_e64 s[20:21], -1, v3
	;; [unrolled: 4-line block ×3, first 2 shown]
	s_and_b64 s[70:71], s[2:3], s[24:25]
	s_and_b64 s[2:3], s[90:91], s[14:15]
	v_or_b32_e32 v3, v10, v2
	v_cmp_gt_i32_e64 s[4:5], s41, v2
	s_and_b64 s[6:7], s[86:87], s[18:19]
	s_and_b64 s[26:27], s[86:87], vcc
	s_and_b64 s[72:73], s[2:3], s[24:25]
	s_and_b64 s[2:3], s[88:89], s[16:17]
	v_cmp_lt_i32_e32 vcc, -1, v3
	v_or_b32_e32 v3, v12, v2
	s_and_b64 s[18:19], s[6:7], s[4:5]
	s_and_b64 s[6:7], s[84:85], s[20:21]
	;; [unrolled: 1-line block ×3, first 2 shown]
	v_or_b32_e32 v4, v15, v2
	v_cmp_lt_i32_e64 s[2:3], -1, v3
	s_and_b64 s[20:21], s[6:7], s[4:5]
	s_and_b64 s[6:7], s[54:55], s[22:23]
	v_or_b32_e32 v3, v8, v2
	s_and_b64 s[22:23], s[6:7], s[4:5]
	s_and_b64 s[6:7], s[52:53], vcc
	s_and_b64 s[2:3], s[0:1], s[2:3]
	v_cmp_lt_i32_e32 vcc, -1, v4
	v_or_b32_e32 v19, v17, v2
	s_and_b64 s[74:75], s[2:3], s[4:5]
	s_and_b64 s[2:3], s[94:95], vcc
	v_cmp_lt_i32_e32 vcc, -1, v3
	v_mul_lo_u32 v21, v6, s42
	v_or_b32_e32 v2, v18, v2
	s_and_b64 s[76:77], s[2:3], s[4:5]
	s_and_b64 s[2:3], s[92:93], vcc
	v_cmp_lt_i32_e32 vcc, -1, v19
	v_mul_lo_u32 v60, v57, s40
	s_and_b64 s[78:79], s[2:3], s[4:5]
	s_and_b64 s[2:3], s[90:91], vcc
	v_cmp_lt_i32_e32 vcc, -1, v2
	s_and_b64 s[80:81], s[2:3], s[4:5]
	s_and_b64 s[2:3], s[88:89], vcc
	s_and_b64 s[82:83], s[2:3], s[4:5]
	v_add_u32_e32 v2, v5, v21
	v_readlane_b32 s2, v63, 5
	v_mul_lo_u32 v22, v2, s43
	v_mul_lo_u32 v2, s2, v60
	s_waitcnt lgkmcnt(0)
	v_mul_lo_u32 v19, s56, v23
	s_and_b64 s[26:27], s[26:27], s[24:25]
	s_and_b64 s[24:25], s[6:7], s[4:5]
	v_ashrrev_i32_e32 v3, 31, v2
	v_readlane_b32 s4, v63, 6
	v_lshlrev_b64 v[2:3], 2, v[2:3]
	v_readlane_b32 s5, v63, 7
	v_mov_b32_e32 v20, s5
	v_add_co_u32_e32 v2, vcc, s4, v2
	v_addc_co_u32_e32 v3, vcc, v20, v3, vcc
	v_ashrrev_i32_e32 v20, 31, v19
	v_readlane_b32 s2, v63, 2
	v_lshlrev_b64 v[19:20], 2, v[19:20]
	v_readlane_b32 s3, v63, 3
	buffer_store_dword v23, off, s[96:99], 0 offset:252 ; 4-byte Folded Spill
	v_mov_b32_e32 v23, s3
	v_add_co_u32_e32 v62, vcc, s2, v19
	v_addc_co_u32_e32 v19, vcc, v23, v20, vcc
	v_add_u32_e32 v23, -2, v6
	v_or_b32_e32 v25, v11, v23
	v_add_u32_e32 v24, v9, v21
	buffer_store_dword v19, off, s[96:99], 0 offset:8 ; 4-byte Folded Spill
	v_or_b32_e32 v19, v15, v23
	v_or_b32_e32 v11, v8, v23
	v_add_u32_e32 v8, v7, v21
	v_cmp_lt_i32_e64 s[10:11], -1, v25
	v_subrev_u32_e32 v21, s42, v21
	v_add_u32_e32 v4, v0, v22
	v_or_b32_e32 v26, v13, v23
	v_or_b32_e32 v27, v16, v23
	v_mul_lo_u32 v13, v24, s43
	v_or_b32_e32 v24, v10, v23
	s_and_b64 s[14:15], s[86:87], s[10:11]
	v_cmp_lt_i32_e64 s[10:11], -1, v19
	v_subrev_u32_e32 v19, s42, v21
	v_or_b32_e32 v20, v17, v23
	v_mul_lo_u32 v17, v8, s43
	v_add_u32_e32 v8, v5, v21
	v_cmp_lt_i32_e64 s[2:3], -1, v27
	v_cmp_lt_i32_e64 s[4:5], -1, v24
	v_add_u32_e32 v24, v9, v21
	v_add_u32_e32 v27, v7, v21
	;; [unrolled: 1-line block ×3, first 2 shown]
	v_ashrrev_i32_e32 v5, 31, v4
	v_lshlrev_b64 v[4:5], 2, v[4:5]
	v_add_u32_e32 v6, v1, v22
	v_add_u32_e32 v52, v7, v19
	v_ashrrev_i32_e32 v7, 31, v6
	buffer_store_dword v4, off, s[96:99], 0 offset:16 ; 4-byte Folded Spill
	s_nop 0
	buffer_store_dword v5, off, s[96:99], 0 offset:20 ; 4-byte Folded Spill
	v_lshlrev_b64 v[4:5], 2, v[6:7]
	v_or_b32_e32 v28, v12, v23
	v_or_b32_e32 v15, v18, v23
	v_cmp_gt_i32_e32 vcc, s41, v23
	v_mul_lo_u32 v23, v8, s43
	v_add_u32_e32 v8, v14, v22
	v_add_u32_e32 v46, v9, v19
	v_ashrrev_i32_e32 v9, 31, v8
	buffer_store_dword v4, off, s[96:99], 0 offset:24 ; 4-byte Folded Spill
	s_nop 0
	buffer_store_dword v5, off, s[96:99], 0 offset:28 ; 4-byte Folded Spill
	v_lshlrev_b64 v[4:5], 2, v[8:9]
	v_add_u32_e32 v10, v0, v13
	v_cmp_lt_i32_e64 s[8:9], -1, v26
	s_and_b64 s[86:87], s[84:85], s[8:9]
	v_cmp_lt_i32_e64 s[8:9], -1, v11
	v_ashrrev_i32_e32 v11, 31, v10
	buffer_store_dword v4, off, s[96:99], 0 offset:32 ; 4-byte Folded Spill
	s_nop 0
	buffer_store_dword v5, off, s[96:99], 0 offset:36 ; 4-byte Folded Spill
	v_lshlrev_b64 v[4:5], 2, v[10:11]
	v_add_u32_e32 v12, v1, v13
	v_add_u32_e32 v26, v14, v13
	v_ashrrev_i32_e32 v13, 31, v12
	buffer_store_dword v4, off, s[96:99], 0 offset:40 ; 4-byte Folded Spill
	s_nop 0
	buffer_store_dword v5, off, s[96:99], 0 offset:44 ; 4-byte Folded Spill
	v_lshlrev_b64 v[4:5], 2, v[12:13]
	v_mul_lo_u32 v42, v27, s43
	v_ashrrev_i32_e32 v27, 31, v26
	buffer_store_dword v4, off, s[96:99], 0 offset:48 ; 4-byte Folded Spill
	s_nop 0
	buffer_store_dword v5, off, s[96:99], 0 offset:52 ; 4-byte Folded Spill
	v_lshlrev_b64 v[4:5], 2, v[26:27]
	v_add_u32_e32 v16, v0, v17
	v_add_u32_e32 v18, v1, v17
	v_add_u32_e32 v30, v14, v17
	v_ashrrev_i32_e32 v17, 31, v16
	buffer_store_dword v4, off, s[96:99], 0 offset:56 ; 4-byte Folded Spill
	s_nop 0
	buffer_store_dword v5, off, s[96:99], 0 offset:60 ; 4-byte Folded Spill
	v_lshlrev_b64 v[4:5], 2, v[16:17]
	v_ashrrev_i32_e32 v19, 31, v18
	buffer_store_dword v4, off, s[96:99], 0 offset:64 ; 4-byte Folded Spill
	s_nop 0
	buffer_store_dword v5, off, s[96:99], 0 offset:68 ; 4-byte Folded Spill
	v_lshlrev_b64 v[4:5], 2, v[18:19]
	;; [unrolled: 5-line block ×3, first 2 shown]
	v_add_u32_e32 v22, v0, v23
	v_mul_lo_u32 v25, v24, s43
	v_add_u32_e32 v24, v1, v23
	v_add_u32_e32 v34, v14, v23
	v_ashrrev_i32_e32 v23, 31, v22
	buffer_store_dword v4, off, s[96:99], 0 offset:80 ; 4-byte Folded Spill
	s_nop 0
	buffer_store_dword v5, off, s[96:99], 0 offset:84 ; 4-byte Folded Spill
	v_lshlrev_b64 v[4:5], 2, v[22:23]
	v_cmp_lt_i32_e64 s[6:7], -1, v28
	v_add_u32_e32 v28, v0, v25
	v_add_u32_e32 v32, v1, v25
	;; [unrolled: 1-line block ×3, first 2 shown]
	v_ashrrev_i32_e32 v25, 31, v24
	buffer_store_dword v4, off, s[96:99], 0 offset:88 ; 4-byte Folded Spill
	s_nop 0
	buffer_store_dword v5, off, s[96:99], 0 offset:92 ; 4-byte Folded Spill
	v_lshlrev_b64 v[4:5], 2, v[24:25]
	v_ashrrev_i32_e32 v35, 31, v34
	buffer_store_dword v4, off, s[96:99], 0 offset:96 ; 4-byte Folded Spill
	s_nop 0
	buffer_store_dword v5, off, s[96:99], 0 offset:100 ; 4-byte Folded Spill
	v_lshlrev_b64 v[4:5], 2, v[34:35]
	;; [unrolled: 5-line block ×5, first 2 shown]
	v_add_u32_e32 v36, v0, v42
	v_ashrrev_i32_e32 v37, 31, v36
	buffer_store_dword v4, off, s[96:99], 0 offset:128 ; 4-byte Folded Spill
	s_nop 0
	buffer_store_dword v5, off, s[96:99], 0 offset:132 ; 4-byte Folded Spill
	v_lshlrev_b64 v[4:5], 2, v[36:37]
	v_add_u32_e32 v40, v1, v42
	v_ashrrev_i32_e32 v41, 31, v40
	buffer_store_dword v4, off, s[96:99], 0 offset:136 ; 4-byte Folded Spill
	s_nop 0
	buffer_store_dword v5, off, s[96:99], 0 offset:140 ; 4-byte Folded Spill
	v_mul_lo_u32 v47, v21, s43
	v_lshlrev_b64 v[4:5], 2, v[40:41]
	v_cmp_lt_i32_e64 s[12:13], -1, v20
	v_add_u32_e32 v20, v14, v42
	v_ashrrev_i32_e32 v21, 31, v20
	buffer_store_dword v4, off, s[96:99], 0 offset:144 ; 4-byte Folded Spill
	s_nop 0
	buffer_store_dword v5, off, s[96:99], 0 offset:148 ; 4-byte Folded Spill
	v_lshlrev_b64 v[4:5], 2, v[20:21]
	v_add_u32_e32 v42, v0, v47
	v_ashrrev_i32_e32 v43, 31, v42
	buffer_store_dword v4, off, s[96:99], 0 offset:152 ; 4-byte Folded Spill
	s_nop 0
	buffer_store_dword v5, off, s[96:99], 0 offset:156 ; 4-byte Folded Spill
	v_lshlrev_b64 v[4:5], 2, v[42:43]
	v_add_u32_e32 v44, v1, v47
	v_ashrrev_i32_e32 v45, 31, v44
	buffer_store_dword v4, off, s[96:99], 0 offset:160 ; 4-byte Folded Spill
	s_nop 0
	buffer_store_dword v5, off, s[96:99], 0 offset:164 ; 4-byte Folded Spill
	s_and_b64 s[84:85], s[14:15], vcc
	v_cmp_lt_i32_e64 s[14:15], -1, v15
	v_mul_lo_u32 v15, v46, s43
	v_lshlrev_b64 v[4:5], 2, v[44:45]
	v_add_u32_e32 v46, v14, v47
	v_ashrrev_i32_e32 v47, 31, v46
	buffer_store_dword v4, off, s[96:99], 0 offset:168 ; 4-byte Folded Spill
	s_nop 0
	buffer_store_dword v5, off, s[96:99], 0 offset:172 ; 4-byte Folded Spill
	v_lshlrev_b64 v[4:5], 2, v[46:47]
	v_add_u32_e32 v48, v0, v15
	v_ashrrev_i32_e32 v49, 31, v48
	buffer_store_dword v4, off, s[96:99], 0 offset:176 ; 4-byte Folded Spill
	s_nop 0
	buffer_store_dword v5, off, s[96:99], 0 offset:180 ; 4-byte Folded Spill
	;; [unrolled: 6-line block ×3, first 2 shown]
	v_mul_lo_u32 v56, v52, s43
	v_lshlrev_b64 v[4:5], 2, v[50:51]
	v_add_u32_e32 v52, v14, v15
	v_ashrrev_i32_e32 v53, 31, v52
	buffer_store_dword v4, off, s[96:99], 0 offset:192 ; 4-byte Folded Spill
	s_nop 0
	buffer_store_dword v5, off, s[96:99], 0 offset:196 ; 4-byte Folded Spill
	v_lshlrev_b64 v[4:5], 2, v[52:53]
	s_and_b64 s[0:1], s[0:1], s[6:7]
	v_add_u32_e32 v54, v0, v56
	v_add_u32_e32 v0, v1, v56
	s_and_b64 s[6:7], s[0:1], vcc
	s_and_b64 s[0:1], s[94:95], s[10:11]
	v_ashrrev_i32_e32 v55, 31, v54
	v_ashrrev_i32_e32 v1, 31, v0
	buffer_store_dword v4, off, s[96:99], 0 offset:200 ; 4-byte Folded Spill
	s_nop 0
	buffer_store_dword v5, off, s[96:99], 0 offset:204 ; 4-byte Folded Spill
	s_and_b64 s[10:11], s[0:1], vcc
	s_and_b64 s[0:1], s[92:93], s[8:9]
	v_lshlrev_b64 v[4:5], 2, v[54:55]
	v_lshlrev_b64 v[0:1], 2, v[0:1]
	s_and_b64 s[8:9], s[0:1], vcc
	s_and_b64 s[0:1], s[90:91], s[12:13]
	v_add_u32_e32 v14, v14, v56
	s_and_b64 s[12:13], s[0:1], vcc
	s_and_b64 s[0:1], s[88:89], s[14:15]
	v_ashrrev_i32_e32 v15, 31, v14
	buffer_store_dword v4, off, s[96:99], 0 offset:208 ; 4-byte Folded Spill
	s_nop 0
	buffer_store_dword v5, off, s[96:99], 0 offset:212 ; 4-byte Folded Spill
	buffer_store_dword v0, off, s[96:99], 0 offset:216 ; 4-byte Folded Spill
	s_nop 0
	buffer_store_dword v1, off, s[96:99], 0 offset:220 ; 4-byte Folded Spill
	s_and_b64 s[14:15], s[0:1], vcc
	v_lshlrev_b64 v[0:1], 2, v[14:15]
	s_mul_i32 s0, s57, s40
	v_mul_lo_u32 v58, s0, v57
	buffer_store_dword v0, off, s[96:99], 0 offset:224 ; 4-byte Folded Spill
	s_nop 0
	buffer_store_dword v1, off, s[96:99], 0 offset:228 ; 4-byte Folded Spill
	s_and_b64 s[2:3], s[54:55], s[2:3]
	s_and_b64 s[4:5], s[52:53], s[4:5]
	v_add_u32_e32 v0, s40, v60
	s_and_b64 s[86:87], s[86:87], vcc
	s_and_b64 s[2:3], s[2:3], vcc
	;; [unrolled: 1-line block ×3, first 2 shown]
	s_mov_b64 s[88:89], 0
	buffer_store_dword v0, off, s[96:99], 0 offset:12 ; 4-byte Folded Spill
	v_mov_b32_e32 v0, 0
	buffer_store_dword v57, off, s[96:99], 0 offset:256 ; 4-byte Folded Spill
	s_branch .LBB17_7
.LBB17_6:                               ;   in Loop: Header=BB17_7 Depth=2
	s_or_b64 exec, exec, s[0:1]
	buffer_load_dword v1, off, s[96:99], 0  ; 4-byte Folded Reload
	v_add_co_u32_e32 v2, vcc, 0x6c, v2
	v_addc_co_u32_e32 v3, vcc, 0, v3, vcc
	v_add_u32_e32 v60, 1, v60
	v_add_u32_e32 v58, s57, v58
	s_waitcnt vmcnt(0)
	v_fmac_f32_e32 v0, v1, v59
	buffer_load_dword v1, off, s[96:99], 0 offset:4 ; 4-byte Folded Reload
	s_waitcnt vmcnt(0)
	v_fmac_f32_e32 v0, v1, v7
	buffer_load_dword v1, off, s[96:99], 0 offset:12 ; 4-byte Folded Reload
	v_fmac_f32_e32 v0, v57, v6
	v_fmac_f32_e32 v0, v5, v11
	;; [unrolled: 1-line block ×25, first 2 shown]
	s_waitcnt vmcnt(0)
	v_cmp_ge_i32_e32 vcc, v60, v1
	s_or_b64 s[88:89], vcc, s[88:89]
	s_andn2_b64 exec, exec, s[88:89]
	s_cbranch_execz .LBB17_2
.LBB17_7:                               ;   Parent Loop BB17_4 Depth=1
                                        ; =>  This Inner Loop Header: Depth=2
	global_load_dword v1, v[2:3], off
	v_ashrrev_i32_e32 v59, 31, v58
	v_lshlrev_b64 v[4:5], 2, v[58:59]
	v_mov_b32_e32 v59, 0
	v_add_co_u32_e32 v61, vcc, v62, v4
	s_waitcnt vmcnt(0)
	buffer_store_dword v1, off, s[96:99], 0 ; 4-byte Folded Spill
	buffer_load_dword v1, off, s[96:99], 0 offset:8 ; 4-byte Folded Reload
	s_waitcnt vmcnt(0)
	v_addc_co_u32_e32 v4, vcc, v1, v5, vcc
	s_and_saveexec_b64 s[0:1], s[26:27]
	s_cbranch_execz .LBB17_9
; %bb.8:                                ;   in Loop: Header=BB17_7 Depth=2
	buffer_load_dword v5, off, s[96:99], 0 offset:16 ; 4-byte Folded Reload
	buffer_load_dword v6, off, s[96:99], 0 offset:20 ; 4-byte Folded Reload
	s_waitcnt vmcnt(1)
	v_add_co_u32_e32 v5, vcc, v61, v5
	s_waitcnt vmcnt(0)
	v_addc_co_u32_e32 v6, vcc, v4, v6, vcc
	global_load_dword v59, v[5:6], off
.LBB17_9:                               ;   in Loop: Header=BB17_7 Depth=2
	s_or_b64 exec, exec, s[0:1]
	global_load_dword v1, v[2:3], off offset:4
	v_mov_b32_e32 v6, 0
	v_mov_b32_e32 v7, 0
	s_waitcnt vmcnt(0)
	buffer_store_dword v1, off, s[96:99], 0 offset:4 ; 4-byte Folded Spill
	s_and_saveexec_b64 s[0:1], s[28:29]
	s_cbranch_execz .LBB17_11
; %bb.10:                               ;   in Loop: Header=BB17_7 Depth=2
	buffer_load_dword v7, off, s[96:99], 0 offset:24 ; 4-byte Folded Reload
	buffer_load_dword v8, off, s[96:99], 0 offset:28 ; 4-byte Folded Reload
	s_waitcnt vmcnt(1)
	v_add_co_u32_e32 v7, vcc, v61, v7
	s_waitcnt vmcnt(0)
	v_addc_co_u32_e32 v8, vcc, v4, v8, vcc
	global_load_dword v7, v[7:8], off
.LBB17_11:                              ;   in Loop: Header=BB17_7 Depth=2
	s_or_b64 exec, exec, s[0:1]
	global_load_dword v57, v[2:3], off offset:8
	s_and_saveexec_b64 s[0:1], s[30:31]
	s_cbranch_execz .LBB17_13
; %bb.12:                               ;   in Loop: Header=BB17_7 Depth=2
	buffer_load_dword v9, off, s[96:99], 0 offset:32 ; 4-byte Folded Reload
	buffer_load_dword v10, off, s[96:99], 0 offset:36 ; 4-byte Folded Reload
	s_waitcnt vmcnt(1)
	v_add_co_u32_e32 v9, vcc, v61, v9
	s_waitcnt vmcnt(0)
	v_addc_co_u32_e32 v10, vcc, v4, v10, vcc
	global_load_dword v6, v[9:10], off
.LBB17_13:                              ;   in Loop: Header=BB17_7 Depth=2
	s_or_b64 exec, exec, s[0:1]
	global_load_dword v5, v[2:3], off offset:12
	v_mov_b32_e32 v10, 0
	v_mov_b32_e32 v11, 0
	s_and_saveexec_b64 s[0:1], s[64:65]
	s_cbranch_execz .LBB17_15
; %bb.14:                               ;   in Loop: Header=BB17_7 Depth=2
	buffer_load_dword v11, off, s[96:99], 0 offset:40 ; 4-byte Folded Reload
	buffer_load_dword v12, off, s[96:99], 0 offset:44 ; 4-byte Folded Reload
	s_waitcnt vmcnt(1)
	v_add_co_u32_e32 v11, vcc, v61, v11
	s_waitcnt vmcnt(0)
	v_addc_co_u32_e32 v12, vcc, v4, v12, vcc
	global_load_dword v11, v[11:12], off
.LBB17_15:                              ;   in Loop: Header=BB17_7 Depth=2
	s_or_b64 exec, exec, s[0:1]
	global_load_dword v12, v[2:3], off offset:16
	s_and_saveexec_b64 s[0:1], s[66:67]
	s_cbranch_execz .LBB17_17
; %bb.16:                               ;   in Loop: Header=BB17_7 Depth=2
	buffer_load_dword v13, off, s[96:99], 0 offset:48 ; 4-byte Folded Reload
	buffer_load_dword v14, off, s[96:99], 0 offset:52 ; 4-byte Folded Reload
	s_waitcnt vmcnt(1)
	v_add_co_u32_e32 v13, vcc, v61, v13
	s_waitcnt vmcnt(0)
	v_addc_co_u32_e32 v14, vcc, v4, v14, vcc
	global_load_dword v10, v[13:14], off
.LBB17_17:                              ;   in Loop: Header=BB17_7 Depth=2
	s_or_b64 exec, exec, s[0:1]
	global_load_dword v13, v[2:3], off offset:20
	v_mov_b32_e32 v14, 0
	v_mov_b32_e32 v15, 0
	;; [unrolled: 28-line block ×12, first 2 shown]
	s_and_saveexec_b64 s[0:1], s[12:13]
	s_cbranch_execz .LBB17_59
; %bb.58:                               ;   in Loop: Header=BB17_7 Depth=2
	buffer_load_dword v55, off, s[96:99], 0 offset:216 ; 4-byte Folded Reload
	buffer_load_dword v56, off, s[96:99], 0 offset:220 ; 4-byte Folded Reload
	s_waitcnt vmcnt(1)
	v_add_co_u32_e32 v55, vcc, v61, v55
	s_waitcnt vmcnt(0)
	v_addc_co_u32_e32 v56, vcc, v4, v56, vcc
	global_load_dword v55, v[55:56], off
.LBB17_59:                              ;   in Loop: Header=BB17_7 Depth=2
	s_or_b64 exec, exec, s[0:1]
	global_load_dword v56, v[2:3], off offset:104
	s_and_saveexec_b64 s[0:1], s[14:15]
	s_cbranch_execz .LBB17_6
; %bb.60:                               ;   in Loop: Header=BB17_7 Depth=2
	buffer_load_dword v8, off, s[96:99], 0 offset:224 ; 4-byte Folded Reload
	buffer_load_dword v9, off, s[96:99], 0 offset:228 ; 4-byte Folded Reload
	v_mov_b32_e32 v1, v62
	s_waitcnt vmcnt(1)
	v_add_co_u32_e32 v61, vcc, v61, v8
	s_waitcnt vmcnt(0)
	v_addc_co_u32_e32 v62, vcc, v4, v9, vcc
	global_load_dword v54, v[61:62], off
	v_mov_b32_e32 v62, v1
	s_branch .LBB17_6
.LBB17_61:                              ;   in Loop: Header=BB17_4 Depth=1
	v_mov_b32_e32 v0, 0
	s_branch .LBB17_3
.LBB17_62:
	s_endpgm
	.section	.rodata,"a",@progbits
	.p2align	6, 0x0
	.amdhsa_kernel _ZN2at6native12_GLOBAL__N_143conv_depthwise3d_cuda_backward_input_kernelIffLi3ELi3ELi3ELi1ELi1ELi1ELi1ELi1ELi1EEEvN5torch10headeronly6detail27GenericPackedTensorAccessorINS5_14TensorAccessorIN3c108ArrayRefIlEEKT_Lm4ENS4_16DefaultPtrTraitsEiEENS_6detail16IndexBoundsCheckILm5EiEESC_Lm5ESD_iEENS6_INS7_ISA_SB_Lm4ESD_iEESH_SB_Lm5ESD_iEESI_iiiiiiiii
		.amdhsa_group_segment_fixed_size 0
		.amdhsa_private_segment_fixed_size 280
		.amdhsa_kernarg_size 440
		.amdhsa_user_sgpr_count 6
		.amdhsa_user_sgpr_private_segment_buffer 1
		.amdhsa_user_sgpr_dispatch_ptr 0
		.amdhsa_user_sgpr_queue_ptr 0
		.amdhsa_user_sgpr_kernarg_segment_ptr 1
		.amdhsa_user_sgpr_dispatch_id 0
		.amdhsa_user_sgpr_flat_scratch_init 0
		.amdhsa_user_sgpr_private_segment_size 0
		.amdhsa_uses_dynamic_stack 0
		.amdhsa_system_sgpr_private_segment_wavefront_offset 1
		.amdhsa_system_sgpr_workgroup_id_x 1
		.amdhsa_system_sgpr_workgroup_id_y 0
		.amdhsa_system_sgpr_workgroup_id_z 0
		.amdhsa_system_sgpr_workgroup_info 0
		.amdhsa_system_vgpr_workitem_id 0
		.amdhsa_next_free_vgpr 64
		.amdhsa_next_free_sgpr 100
		.amdhsa_reserve_vcc 1
		.amdhsa_reserve_flat_scratch 0
		.amdhsa_float_round_mode_32 0
		.amdhsa_float_round_mode_16_64 0
		.amdhsa_float_denorm_mode_32 3
		.amdhsa_float_denorm_mode_16_64 3
		.amdhsa_dx10_clamp 1
		.amdhsa_ieee_mode 1
		.amdhsa_fp16_overflow 0
		.amdhsa_exception_fp_ieee_invalid_op 0
		.amdhsa_exception_fp_denorm_src 0
		.amdhsa_exception_fp_ieee_div_zero 0
		.amdhsa_exception_fp_ieee_overflow 0
		.amdhsa_exception_fp_ieee_underflow 0
		.amdhsa_exception_fp_ieee_inexact 0
		.amdhsa_exception_int_div_zero 0
	.end_amdhsa_kernel
	.section	.text._ZN2at6native12_GLOBAL__N_143conv_depthwise3d_cuda_backward_input_kernelIffLi3ELi3ELi3ELi1ELi1ELi1ELi1ELi1ELi1EEEvN5torch10headeronly6detail27GenericPackedTensorAccessorINS5_14TensorAccessorIN3c108ArrayRefIlEEKT_Lm4ENS4_16DefaultPtrTraitsEiEENS_6detail16IndexBoundsCheckILm5EiEESC_Lm5ESD_iEENS6_INS7_ISA_SB_Lm4ESD_iEESH_SB_Lm5ESD_iEESI_iiiiiiiii,"axG",@progbits,_ZN2at6native12_GLOBAL__N_143conv_depthwise3d_cuda_backward_input_kernelIffLi3ELi3ELi3ELi1ELi1ELi1ELi1ELi1ELi1EEEvN5torch10headeronly6detail27GenericPackedTensorAccessorINS5_14TensorAccessorIN3c108ArrayRefIlEEKT_Lm4ENS4_16DefaultPtrTraitsEiEENS_6detail16IndexBoundsCheckILm5EiEESC_Lm5ESD_iEENS6_INS7_ISA_SB_Lm4ESD_iEESH_SB_Lm5ESD_iEESI_iiiiiiiii,comdat
.Lfunc_end17:
	.size	_ZN2at6native12_GLOBAL__N_143conv_depthwise3d_cuda_backward_input_kernelIffLi3ELi3ELi3ELi1ELi1ELi1ELi1ELi1ELi1EEEvN5torch10headeronly6detail27GenericPackedTensorAccessorINS5_14TensorAccessorIN3c108ArrayRefIlEEKT_Lm4ENS4_16DefaultPtrTraitsEiEENS_6detail16IndexBoundsCheckILm5EiEESC_Lm5ESD_iEENS6_INS7_ISA_SB_Lm4ESD_iEESH_SB_Lm5ESD_iEESI_iiiiiiiii, .Lfunc_end17-_ZN2at6native12_GLOBAL__N_143conv_depthwise3d_cuda_backward_input_kernelIffLi3ELi3ELi3ELi1ELi1ELi1ELi1ELi1ELi1EEEvN5torch10headeronly6detail27GenericPackedTensorAccessorINS5_14TensorAccessorIN3c108ArrayRefIlEEKT_Lm4ENS4_16DefaultPtrTraitsEiEENS_6detail16IndexBoundsCheckILm5EiEESC_Lm5ESD_iEENS6_INS7_ISA_SB_Lm4ESD_iEESH_SB_Lm5ESD_iEESI_iiiiiiiii
                                        ; -- End function
	.set _ZN2at6native12_GLOBAL__N_143conv_depthwise3d_cuda_backward_input_kernelIffLi3ELi3ELi3ELi1ELi1ELi1ELi1ELi1ELi1EEEvN5torch10headeronly6detail27GenericPackedTensorAccessorINS5_14TensorAccessorIN3c108ArrayRefIlEEKT_Lm4ENS4_16DefaultPtrTraitsEiEENS_6detail16IndexBoundsCheckILm5EiEESC_Lm5ESD_iEENS6_INS7_ISA_SB_Lm4ESD_iEESH_SB_Lm5ESD_iEESI_iiiiiiiii.num_vgpr, 64
	.set _ZN2at6native12_GLOBAL__N_143conv_depthwise3d_cuda_backward_input_kernelIffLi3ELi3ELi3ELi1ELi1ELi1ELi1ELi1ELi1EEEvN5torch10headeronly6detail27GenericPackedTensorAccessorINS5_14TensorAccessorIN3c108ArrayRefIlEEKT_Lm4ENS4_16DefaultPtrTraitsEiEENS_6detail16IndexBoundsCheckILm5EiEESC_Lm5ESD_iEENS6_INS7_ISA_SB_Lm4ESD_iEESH_SB_Lm5ESD_iEESI_iiiiiiiii.num_agpr, 0
	.set _ZN2at6native12_GLOBAL__N_143conv_depthwise3d_cuda_backward_input_kernelIffLi3ELi3ELi3ELi1ELi1ELi1ELi1ELi1ELi1EEEvN5torch10headeronly6detail27GenericPackedTensorAccessorINS5_14TensorAccessorIN3c108ArrayRefIlEEKT_Lm4ENS4_16DefaultPtrTraitsEiEENS_6detail16IndexBoundsCheckILm5EiEESC_Lm5ESD_iEENS6_INS7_ISA_SB_Lm4ESD_iEESH_SB_Lm5ESD_iEESI_iiiiiiiii.numbered_sgpr, 100
	.set _ZN2at6native12_GLOBAL__N_143conv_depthwise3d_cuda_backward_input_kernelIffLi3ELi3ELi3ELi1ELi1ELi1ELi1ELi1ELi1EEEvN5torch10headeronly6detail27GenericPackedTensorAccessorINS5_14TensorAccessorIN3c108ArrayRefIlEEKT_Lm4ENS4_16DefaultPtrTraitsEiEENS_6detail16IndexBoundsCheckILm5EiEESC_Lm5ESD_iEENS6_INS7_ISA_SB_Lm4ESD_iEESH_SB_Lm5ESD_iEESI_iiiiiiiii.num_named_barrier, 0
	.set _ZN2at6native12_GLOBAL__N_143conv_depthwise3d_cuda_backward_input_kernelIffLi3ELi3ELi3ELi1ELi1ELi1ELi1ELi1ELi1EEEvN5torch10headeronly6detail27GenericPackedTensorAccessorINS5_14TensorAccessorIN3c108ArrayRefIlEEKT_Lm4ENS4_16DefaultPtrTraitsEiEENS_6detail16IndexBoundsCheckILm5EiEESC_Lm5ESD_iEENS6_INS7_ISA_SB_Lm4ESD_iEESH_SB_Lm5ESD_iEESI_iiiiiiiii.private_seg_size, 280
	.set _ZN2at6native12_GLOBAL__N_143conv_depthwise3d_cuda_backward_input_kernelIffLi3ELi3ELi3ELi1ELi1ELi1ELi1ELi1ELi1EEEvN5torch10headeronly6detail27GenericPackedTensorAccessorINS5_14TensorAccessorIN3c108ArrayRefIlEEKT_Lm4ENS4_16DefaultPtrTraitsEiEENS_6detail16IndexBoundsCheckILm5EiEESC_Lm5ESD_iEENS6_INS7_ISA_SB_Lm4ESD_iEESH_SB_Lm5ESD_iEESI_iiiiiiiii.uses_vcc, 1
	.set _ZN2at6native12_GLOBAL__N_143conv_depthwise3d_cuda_backward_input_kernelIffLi3ELi3ELi3ELi1ELi1ELi1ELi1ELi1ELi1EEEvN5torch10headeronly6detail27GenericPackedTensorAccessorINS5_14TensorAccessorIN3c108ArrayRefIlEEKT_Lm4ENS4_16DefaultPtrTraitsEiEENS_6detail16IndexBoundsCheckILm5EiEESC_Lm5ESD_iEENS6_INS7_ISA_SB_Lm4ESD_iEESH_SB_Lm5ESD_iEESI_iiiiiiiii.uses_flat_scratch, 0
	.set _ZN2at6native12_GLOBAL__N_143conv_depthwise3d_cuda_backward_input_kernelIffLi3ELi3ELi3ELi1ELi1ELi1ELi1ELi1ELi1EEEvN5torch10headeronly6detail27GenericPackedTensorAccessorINS5_14TensorAccessorIN3c108ArrayRefIlEEKT_Lm4ENS4_16DefaultPtrTraitsEiEENS_6detail16IndexBoundsCheckILm5EiEESC_Lm5ESD_iEENS6_INS7_ISA_SB_Lm4ESD_iEESH_SB_Lm5ESD_iEESI_iiiiiiiii.has_dyn_sized_stack, 0
	.set _ZN2at6native12_GLOBAL__N_143conv_depthwise3d_cuda_backward_input_kernelIffLi3ELi3ELi3ELi1ELi1ELi1ELi1ELi1ELi1EEEvN5torch10headeronly6detail27GenericPackedTensorAccessorINS5_14TensorAccessorIN3c108ArrayRefIlEEKT_Lm4ENS4_16DefaultPtrTraitsEiEENS_6detail16IndexBoundsCheckILm5EiEESC_Lm5ESD_iEENS6_INS7_ISA_SB_Lm4ESD_iEESH_SB_Lm5ESD_iEESI_iiiiiiiii.has_recursion, 0
	.set _ZN2at6native12_GLOBAL__N_143conv_depthwise3d_cuda_backward_input_kernelIffLi3ELi3ELi3ELi1ELi1ELi1ELi1ELi1ELi1EEEvN5torch10headeronly6detail27GenericPackedTensorAccessorINS5_14TensorAccessorIN3c108ArrayRefIlEEKT_Lm4ENS4_16DefaultPtrTraitsEiEENS_6detail16IndexBoundsCheckILm5EiEESC_Lm5ESD_iEENS6_INS7_ISA_SB_Lm4ESD_iEESH_SB_Lm5ESD_iEESI_iiiiiiiii.has_indirect_call, 0
	.section	.AMDGPU.csdata,"",@progbits
; Kernel info:
; codeLenInByte = 5372
; TotalNumSgprs: 104
; NumVgprs: 64
; ScratchSize: 280
; MemoryBound: 0
; FloatMode: 240
; IeeeMode: 1
; LDSByteSize: 0 bytes/workgroup (compile time only)
; SGPRBlocks: 12
; VGPRBlocks: 15
; NumSGPRsForWavesPerEU: 104
; NumVGPRsForWavesPerEU: 64
; Occupancy: 4
; WaveLimiterHint : 0
; COMPUTE_PGM_RSRC2:SCRATCH_EN: 1
; COMPUTE_PGM_RSRC2:USER_SGPR: 6
; COMPUTE_PGM_RSRC2:TRAP_HANDLER: 0
; COMPUTE_PGM_RSRC2:TGID_X_EN: 1
; COMPUTE_PGM_RSRC2:TGID_Y_EN: 0
; COMPUTE_PGM_RSRC2:TGID_Z_EN: 0
; COMPUTE_PGM_RSRC2:TIDIG_COMP_CNT: 0
	.section	.text._ZN2at6native12_GLOBAL__N_143conv_depthwise3d_cuda_backward_input_kernelIffLi3ELi3ELi3ELi1ELi1ELi1ELin1ELin1ELin1EEEvN5torch10headeronly6detail27GenericPackedTensorAccessorINS5_14TensorAccessorIN3c108ArrayRefIlEEKT_Lm4ENS4_16DefaultPtrTraitsEiEENS_6detail16IndexBoundsCheckILm5EiEESC_Lm5ESD_iEENS6_INS7_ISA_SB_Lm4ESD_iEESH_SB_Lm5ESD_iEESI_iiiiiiiii,"axG",@progbits,_ZN2at6native12_GLOBAL__N_143conv_depthwise3d_cuda_backward_input_kernelIffLi3ELi3ELi3ELi1ELi1ELi1ELin1ELin1ELin1EEEvN5torch10headeronly6detail27GenericPackedTensorAccessorINS5_14TensorAccessorIN3c108ArrayRefIlEEKT_Lm4ENS4_16DefaultPtrTraitsEiEENS_6detail16IndexBoundsCheckILm5EiEESC_Lm5ESD_iEENS6_INS7_ISA_SB_Lm4ESD_iEESH_SB_Lm5ESD_iEESI_iiiiiiiii,comdat
	.globl	_ZN2at6native12_GLOBAL__N_143conv_depthwise3d_cuda_backward_input_kernelIffLi3ELi3ELi3ELi1ELi1ELi1ELin1ELin1ELin1EEEvN5torch10headeronly6detail27GenericPackedTensorAccessorINS5_14TensorAccessorIN3c108ArrayRefIlEEKT_Lm4ENS4_16DefaultPtrTraitsEiEENS_6detail16IndexBoundsCheckILm5EiEESC_Lm5ESD_iEENS6_INS7_ISA_SB_Lm4ESD_iEESH_SB_Lm5ESD_iEESI_iiiiiiiii ; -- Begin function _ZN2at6native12_GLOBAL__N_143conv_depthwise3d_cuda_backward_input_kernelIffLi3ELi3ELi3ELi1ELi1ELi1ELin1ELin1ELin1EEEvN5torch10headeronly6detail27GenericPackedTensorAccessorINS5_14TensorAccessorIN3c108ArrayRefIlEEKT_Lm4ENS4_16DefaultPtrTraitsEiEENS_6detail16IndexBoundsCheckILm5EiEESC_Lm5ESD_iEENS6_INS7_ISA_SB_Lm4ESD_iEESH_SB_Lm5ESD_iEESI_iiiiiiiii
	.p2align	8
	.type	_ZN2at6native12_GLOBAL__N_143conv_depthwise3d_cuda_backward_input_kernelIffLi3ELi3ELi3ELi1ELi1ELi1ELin1ELin1ELin1EEEvN5torch10headeronly6detail27GenericPackedTensorAccessorINS5_14TensorAccessorIN3c108ArrayRefIlEEKT_Lm4ENS4_16DefaultPtrTraitsEiEENS_6detail16IndexBoundsCheckILm5EiEESC_Lm5ESD_iEENS6_INS7_ISA_SB_Lm4ESD_iEESH_SB_Lm5ESD_iEESI_iiiiiiiii,@function
_ZN2at6native12_GLOBAL__N_143conv_depthwise3d_cuda_backward_input_kernelIffLi3ELi3ELi3ELi1ELi1ELi1ELin1ELin1ELin1EEEvN5torch10headeronly6detail27GenericPackedTensorAccessorINS5_14TensorAccessorIN3c108ArrayRefIlEEKT_Lm4ENS4_16DefaultPtrTraitsEiEENS_6detail16IndexBoundsCheckILm5EiEESC_Lm5ESD_iEENS6_INS7_ISA_SB_Lm4ESD_iEESH_SB_Lm5ESD_iEESI_iiiiiiiii: ; @_ZN2at6native12_GLOBAL__N_143conv_depthwise3d_cuda_backward_input_kernelIffLi3ELi3ELi3ELi1ELi1ELi1ELin1ELin1ELin1EEEvN5torch10headeronly6detail27GenericPackedTensorAccessorINS5_14TensorAccessorIN3c108ArrayRefIlEEKT_Lm4ENS4_16DefaultPtrTraitsEiEENS_6detail16IndexBoundsCheckILm5EiEESC_Lm5ESD_iEENS6_INS7_ISA_SB_Lm4ESD_iEESH_SB_Lm5ESD_iEESI_iiiiiiiii
; %bb.0:
	s_load_dwordx4 s[8:11], s[4:5], 0x38
	s_load_dwordx2 s[16:17], s[4:5], 0x48
	s_mov_b64 s[98:99], s[2:3]
	s_mov_b64 s[96:97], s[0:1]
	s_add_u32 s96, s96, s7
	s_addc_u32 s97, s97, 0
	s_waitcnt lgkmcnt(0)
	s_abs_i32 s0, s9
	v_cvt_f32_u32_e32 v2, s0
	s_load_dword s2, s[4:5], 0xc4
                                        ; implicit-def: $vgpr62 : SGPR spill to VGPR lane
	v_mov_b32_e32 v1, 0
	v_writelane_b32 v62, s0, 0
	v_rcp_iflag_f32_e32 v2, v2
	s_add_u32 s0, s4, 0xb8
	v_mov_b32_e32 v3, s6
	s_addc_u32 s1, s5, 0
	s_waitcnt lgkmcnt(0)
	s_and_b32 s2, s2, 0xffff
	v_mul_f32_e32 v2, 0x4f7ffffe, v2
	v_mad_u64_u32 v[4:5], s[6:7], s2, v3, v[0:1]
	v_writelane_b32 v62, s8, 1
	v_cvt_u32_f32_e32 v0, v2
	v_writelane_b32 v62, s9, 2
	v_writelane_b32 v62, s10, 3
	s_mul_i32 s6, s17, s8
	v_writelane_b32 v62, s11, 4
	s_ashr_i32 s7, s6, 31
	v_writelane_b32 v62, s6, 5
	v_cmp_gt_i64_e32 vcc, s[6:7], v[4:5]
	v_writelane_b32 v62, s7, 6
	v_readfirstlane_b32 s3, v0
	s_and_saveexec_b64 s[6:7], vcc
	s_cbranch_execz .LBB18_63
; %bb.1:
	s_load_dwordx4 s[20:23], s[4:5], 0xc
	s_load_dwordx4 s[12:15], s[4:5], 0x38
	s_load_dwordx2 s[8:9], s[4:5], 0x0
	v_readlane_b32 s11, v62, 0
	s_sub_i32 s6, 0, s11
	s_waitcnt lgkmcnt(0)
	s_ashr_i32 s7, s20, 31
	s_ashr_i32 s10, s13, 31
	s_load_dwordx2 s[12:13], s[4:5], 0xa0
	v_writelane_b32 v62, s8, 7
	v_writelane_b32 v62, s9, 8
	;; [unrolled: 1-line block ×3, first 2 shown]
	s_mul_i32 s9, s6, s3
	v_writelane_b32 v62, s21, 10
	s_mul_hi_u32 s9, s3, s9
	v_writelane_b32 v62, s22, 11
	s_abs_i32 s8, s20
	s_add_i32 s3, s3, s9
	v_writelane_b32 v62, s23, 12
	s_mul_hi_u32 s3, s8, s3
	s_waitcnt lgkmcnt(0)
	v_writelane_b32 v62, s12, 13
	s_mul_i32 s9, s3, s11
	v_writelane_b32 v62, s13, 14
	s_sub_i32 s8, s8, s9
	v_writelane_b32 v62, s10, 15
	s_xor_b32 s7, s7, s10
	s_add_i32 s9, s3, 1
	s_sub_i32 s10, s8, s11
	s_cmp_ge_u32 s8, s11
	s_cselect_b32 s3, s9, s3
	s_cselect_b32 s8, s10, s8
	s_add_i32 s9, s3, 1
	s_cmp_ge_u32 s8, s11
	s_cselect_b32 s3, s9, s3
	s_xor_b32 s3, s3, s7
	s_sub_i32 s7, s3, s7
	s_load_dword s3, s[0:1], 0x0
	s_load_dwordx4 s[8:11], s[4:5], 0x90
	s_load_dword s12, s[4:5], 0x7c
	v_writelane_b32 v62, s7, 16
	s_cmp_gt_i32 s7, 0
	s_cselect_b64 s[0:1], -1, 0
	s_abs_i32 s7, s16
	s_waitcnt lgkmcnt(0)
	v_writelane_b32 v62, s12, 17
	s_load_dwordx2 s[60:61], s[4:5], 0x1c
	s_load_dwordx2 s[12:13], s[4:5], 0x30
	v_cvt_f32_u32_e32 v1, s7
	s_load_dwordx4 s[20:23], s[4:5], 0x50
	s_mul_i32 s2, s3, s2
	s_abs_i32 s3, s15
	s_waitcnt lgkmcnt(0)
	v_writelane_b32 v62, s12, 18
	v_writelane_b32 v62, s13, 19
	s_load_dwordx2 s[12:13], s[4:5], 0x60
	v_rcp_iflag_f32_e32 v1, v1
	v_cvt_f32_u32_e32 v2, s3
                                        ; kill: killed $sgpr4 killed $sgpr5
	s_abs_i32 s4, s14
	v_mov_b32_e32 v7, v5
	s_waitcnt lgkmcnt(0)
	v_writelane_b32 v62, s12, 20
	v_writelane_b32 v62, s13, 21
	;; [unrolled: 1-line block ×4, first 2 shown]
	v_mul_f32_e32 v1, 0x4f7ffffe, v1
	v_writelane_b32 v62, s22, 24
	v_cvt_u32_f32_e32 v1, v1
	v_writelane_b32 v62, s23, 25
	v_writelane_b32 v62, s2, 26
	s_ashr_i32 s2, s16, 31
	v_writelane_b32 v62, s2, 27
	s_sub_i32 s2, 0, s7
	v_mul_lo_u32 v3, s2, v1
	v_rcp_iflag_f32_e32 v2, v2
	v_mov_b32_e32 v6, v4
	v_cvt_f32_u32_e32 v4, s4
	v_mul_hi_u32 v3, v1, v3
	v_mul_f32_e32 v2, 0x4f7ffffe, v2
	v_cvt_u32_f32_e32 v2, v2
	v_rcp_iflag_f32_e32 v4, v4
	v_add_u32_e32 v1, v1, v3
	s_sub_i32 s2, 0, s3
	buffer_store_dword v1, off, s[96:99], 0 offset:260 ; 4-byte Folded Spill
	v_mul_lo_u32 v1, s2, v2
	v_mul_f32_e32 v3, 0x4f7ffffe, v4
	v_cvt_u32_f32_e32 v3, v3
	v_writelane_b32 v62, s7, 28
	v_writelane_b32 v62, s3, 29
	s_ashr_i32 s2, s15, 31
	v_writelane_b32 v62, s2, 30
	v_mul_hi_u32 v1, v2, v1
	s_sub_i32 s2, 0, s4
	v_mul_lo_u32 v4, s2, v3
	s_abs_i32 s2, s8
	v_cvt_f32_u32_e32 v5, s2
	v_add_u32_e32 v1, v2, v1
	buffer_store_dword v1, off, s[96:99], 0 offset:264 ; 4-byte Folded Spill
	v_mul_hi_u32 v1, v3, v4
	v_mul_lo_u32 v2, s6, v0
	v_rcp_iflag_f32_e32 v4, v5
	v_writelane_b32 v62, s4, 31
	s_ashr_i32 s3, s14, 31
	v_writelane_b32 v62, s3, 32
	v_add_u32_e32 v1, v3, v1
	s_abs_i32 s3, s9
	buffer_store_dword v1, off, s[96:99], 0 offset:268 ; 4-byte Folded Spill
	v_mul_hi_u32 v1, v0, v2
	v_cvt_f32_u32_e32 v3, s3
	s_abs_i32 s33, s10
	v_mul_f32_e32 v2, 0x4f7ffffe, v4
	v_cvt_f32_u32_e32 v4, s33
	v_rcp_iflag_f32_e32 v3, v3
	v_add_u32_e32 v0, v0, v1
	v_cvt_u32_f32_e32 v2, v2
	buffer_store_dword v0, off, s[96:99], 0 offset:272 ; 4-byte Folded Spill
	v_rcp_iflag_f32_e32 v0, v4
	v_writelane_b32 v62, s2, 33
	s_sub_i32 s2, 0, s2
	v_mul_f32_e32 v3, 0x4f7ffffe, v3
	v_mul_lo_u32 v5, s2, v2
	v_cvt_u32_f32_e32 v3, v3
	v_mul_f32_e32 v0, 0x4f7ffffe, v0
	v_cvt_u32_f32_e32 v0, v0
	s_sub_i32 s2, 0, s3
	v_mul_hi_u32 v1, v2, v5
	v_mul_lo_u32 v4, s2, v3
	s_sub_i32 s2, 0, s33
	v_mul_lo_u32 v5, s2, v0
	v_writelane_b32 v62, s3, 34
	s_ashr_i32 s2, s8, 31
	v_add_u32_e32 v1, v2, v1
	v_writelane_b32 v62, s2, 35
	buffer_store_dword v1, off, s[96:99], 0 offset:276 ; 4-byte Folded Spill
	v_mul_hi_u32 v1, v0, v5
	s_ashr_i32 s2, s9, 31
	v_writelane_b32 v62, s2, 36
	v_writelane_b32 v62, s8, 37
	;; [unrolled: 1-line block ×4, first 2 shown]
	v_add_u32_e32 v0, v0, v1
	v_writelane_b32 v62, s11, 40
	s_ashr_i32 s2, s10, 31
	buffer_store_dword v0, off, s[96:99], 0 offset:284 ; 4-byte Folded Spill
	v_cndmask_b32_e64 v0, 0, 1, s[0:1]
	v_writelane_b32 v62, s2, 41
	v_cmp_ne_u32_e64 s[0:1], 1, v0
	v_mul_hi_u32 v4, v3, v4
	v_writelane_b32 v62, s0, 42
	v_writelane_b32 v62, s1, 43
	;; [unrolled: 1-line block ×4, first 2 shown]
	v_add_u32_e32 v2, v3, v4
	v_mov_b32_e32 v4, v6
	v_writelane_b32 v62, s60, 46
	v_mov_b32_e32 v5, v7
	s_mov_b64 s[8:9], 0
	v_writelane_b32 v62, s61, 47
	buffer_store_dword v2, off, s[96:99], 0 offset:280 ; 4-byte Folded Spill
.LBB18_2:                               ; =>This Loop Header: Depth=1
                                        ;     Child Loop BB18_5 Depth 2
	buffer_load_dword v1, off, s[96:99], 0 offset:260 ; 4-byte Folded Reload
	v_sub_u32_e32 v0, 0, v4
	v_max_i32_e32 v0, v4, v0
	v_writelane_b32 v62, s8, 48
	v_writelane_b32 v62, s9, 49
	v_readlane_b32 s0, v62, 28
	v_mov_b32_e32 v9, v5
	v_ashrrev_i32_e32 v3, 31, v4
	v_mov_b32_e32 v8, v4
	v_readlane_b32 s1, v62, 27
	v_xor_b32_e32 v3, s1, v3
	v_readlane_b32 s1, v62, 30
	s_waitcnt vmcnt(0)
	v_mul_hi_u32 v1, v0, v1
	v_mul_lo_u32 v2, v1, s0
	v_add_u32_e32 v4, 1, v1
	v_sub_u32_e32 v0, v0, v2
	v_cmp_le_u32_e32 vcc, s0, v0
	v_subrev_u32_e32 v2, s0, v0
	v_cndmask_b32_e32 v1, v1, v4, vcc
	v_cndmask_b32_e32 v0, v0, v2, vcc
	v_add_u32_e32 v2, 1, v1
	v_cmp_le_u32_e32 vcc, s0, v0
	v_cndmask_b32_e32 v0, v1, v2, vcc
	buffer_load_dword v2, off, s[96:99], 0 offset:264 ; 4-byte Folded Reload
	v_xor_b32_e32 v0, v0, v3
	v_sub_u32_e32 v0, v0, v3
	v_sub_u32_e32 v1, 0, v0
	v_max_i32_e32 v1, v0, v1
	v_readlane_b32 s0, v62, 29
	v_ashrrev_i32_e32 v4, 31, v0
	v_xor_b32_e32 v4, s1, v4
	v_readlane_b32 s1, v62, 32
	s_waitcnt vmcnt(0)
	v_mul_hi_u32 v2, v1, v2
	v_mul_lo_u32 v3, v2, s0
	v_add_u32_e32 v5, 1, v2
	v_sub_u32_e32 v1, v1, v3
	v_cmp_le_u32_e32 vcc, s0, v1
	v_subrev_u32_e32 v3, s0, v1
	v_cndmask_b32_e32 v2, v2, v5, vcc
	v_cndmask_b32_e32 v1, v1, v3, vcc
	v_add_u32_e32 v3, 1, v2
	v_cmp_le_u32_e32 vcc, s0, v1
	v_cndmask_b32_e32 v1, v2, v3, vcc
	buffer_load_dword v3, off, s[96:99], 0 offset:268 ; 4-byte Folded Reload
	v_xor_b32_e32 v1, v1, v4
	v_sub_u32_e32 v1, v1, v4
	v_sub_u32_e32 v2, 0, v1
	v_max_i32_e32 v2, v1, v2
	v_readlane_b32 s0, v62, 31
	v_ashrrev_i32_e32 v6, 31, v1
	v_xor_b32_e32 v6, s1, v6
	v_mul_lo_u32 v4, v0, s16
	s_waitcnt vmcnt(0)
	v_mul_hi_u32 v3, v2, v3
	v_mul_lo_u32 v5, v3, s0
	v_add_u32_e32 v7, 1, v3
	v_sub_u32_e32 v2, v2, v5
	v_cmp_le_u32_e32 vcc, s0, v2
	v_subrev_u32_e32 v5, s0, v2
	v_cndmask_b32_e32 v3, v3, v7, vcc
	v_cndmask_b32_e32 v2, v2, v5, vcc
	v_add_u32_e32 v5, 1, v3
	v_cmp_le_u32_e32 vcc, s0, v2
	v_cndmask_b32_e32 v2, v3, v5, vcc
	buffer_load_dword v5, off, s[96:99], 0 offset:272 ; 4-byte Folded Reload
	s_nop 0
	buffer_store_dword v8, off, s[96:99], 0 offset:232 ; 4-byte Folded Spill
	s_nop 0
	buffer_store_dword v9, off, s[96:99], 0 offset:236 ; 4-byte Folded Spill
	v_xor_b32_e32 v2, v2, v6
	v_sub_u32_e32 v2, v2, v6
	v_sub_u32_e32 v3, 0, v2
	v_max_i32_e32 v3, v2, v3
	v_readlane_b32 s0, v62, 1
	v_readlane_b32 s0, v62, 0
	;; [unrolled: 1-line block ×3, first 2 shown]
	v_mul_lo_u32 v7, v2, s2
	v_readlane_b32 s2, v62, 15
	v_readlane_b32 s1, v62, 2
	;; [unrolled: 1-line block ×3, first 2 shown]
	v_sub_u32_e32 v7, v1, v7
	v_sub_u32_e32 v10, v8, v4
	s_waitcnt vmcnt(2)
	v_mul_hi_u32 v5, v3, v5
	v_ashrrev_i32_e32 v8, 31, v2
	v_xor_b32_e32 v8, s2, v8
	v_mul_lo_u32 v4, v1, s3
	v_mul_lo_u32 v6, v5, s0
	v_sub_u32_e32 v3, v3, v6
	v_add_u32_e32 v6, 1, v5
	v_cmp_le_u32_e32 vcc, s0, v3
	v_cndmask_b32_e32 v5, v5, v6, vcc
	v_subrev_u32_e32 v6, s0, v3
	v_cndmask_b32_e32 v3, v3, v6, vcc
	v_add_u32_e32 v6, 1, v5
	v_cmp_le_u32_e32 vcc, s0, v3
	v_cndmask_b32_e32 v3, v5, v6, vcc
	v_xor_b32_e32 v3, v3, v8
	v_sub_u32_e32 v29, v3, v8
	v_mul_lo_u32 v3, v29, s1
	v_readlane_b32 s0, v62, 42
	v_readlane_b32 s1, v62, 43
	v_sub_u32_e32 v8, v0, v4
	s_and_b64 vcc, exec, s[0:1]
	v_sub_u32_e32 v58, v2, v3
	s_cbranch_vccnz .LBB18_60
; %bb.3:                                ;   in Loop: Header=BB18_2 Depth=1
	buffer_load_dword v18, off, s[96:99], 0 offset:276 ; 4-byte Folded Reload
	buffer_load_dword v13, off, s[96:99], 0 offset:280 ; 4-byte Folded Reload
	;; [unrolled: 1-line block ×3, first 2 shown]
	v_readlane_b32 s84, v62, 37
	v_readlane_b32 s87, v62, 40
	buffer_store_dword v7, off, s[96:99], 0 offset:248 ; 4-byte Folded Spill
	v_add_u32_e32 v7, s87, v7
	v_sub_u32_e32 v0, 0, v7
	v_max_i32_e32 v0, v7, v0
	v_readlane_b32 s0, v62, 13
	v_add_u32_e32 v9, s0, v8
	v_readlane_b32 s0, v62, 33
	buffer_store_dword v8, off, s[96:99], 0 offset:244 ; 4-byte Folded Spill
	v_readlane_b32 s1, v62, 14
	v_add_u32_e32 v5, s1, v10
	v_readlane_b32 s1, v62, 34
	v_ashrrev_i32_e32 v3, 31, v7
	v_readlane_b32 s54, v62, 35
	v_xor_b32_e32 v3, s54, v3
	buffer_store_dword v10, off, s[96:99], 0 offset:240 ; 4-byte Folded Spill
	v_readlane_b32 s2, v62, 36
	v_add_u32_e32 v11, -2, v9
	v_add_u32_e32 v12, -1, v9
	v_readlane_b32 s6, v62, 41
	v_add_u32_e32 v14, -2, v7
	v_ashrrev_i32_e32 v15, 31, v12
	v_xor_b32_e32 v15, s2, v15
	v_add_u32_e32 v17, -1, v7
	v_readlane_b32 s60, v62, 9
	v_readlane_b32 s62, v62, 11
	;; [unrolled: 1-line block ×6, first 2 shown]
                                        ; implicit-def: $vgpr63 : SGPR spill to VGPR lane
	buffer_store_dword v29, off, s[96:99], 0 offset:256 ; 4-byte Folded Spill
	s_waitcnt vmcnt(6)
	v_mul_hi_u32 v1, v0, v18
	v_mul_lo_u32 v2, v1, s0
	v_add_u32_e32 v4, 1, v1
	v_sub_u32_e32 v0, v0, v2
	v_cmp_le_u32_e32 vcc, s0, v0
	v_cndmask_b32_e32 v1, v1, v4, vcc
	v_sub_u32_e32 v4, 0, v9
	v_max_i32_e32 v4, v9, v4
	s_waitcnt vmcnt(5)
	v_mul_hi_u32 v8, v4, v13
	v_subrev_u32_e32 v2, s0, v0
	v_cndmask_b32_e32 v0, v0, v2, vcc
	v_add_u32_e32 v2, 1, v1
	v_cmp_le_u32_e32 vcc, s0, v0
	v_cndmask_b32_e32 v0, v1, v2, vcc
	v_mul_lo_u32 v1, v8, s1
	v_add_u32_e32 v2, 1, v8
	v_xor_b32_e32 v0, v0, v3
	v_sub_u32_e32 v6, v0, v3
	v_sub_u32_e32 v1, v4, v1
	v_cmp_le_u32_e32 vcc, s1, v1
	v_sub_u32_e32 v4, 0, v5
	v_cndmask_b32_e32 v2, v8, v2, vcc
	v_max_i32_e32 v8, v5, v4
	s_waitcnt vmcnt(4)
	v_mul_hi_u32 v10, v8, v20
	v_subrev_u32_e32 v3, s1, v1
	v_cndmask_b32_e32 v1, v1, v3, vcc
	v_add_u32_e32 v3, 1, v2
	v_cmp_le_u32_e32 vcc, s1, v1
	v_cndmask_b32_e32 v1, v2, v3, vcc
	v_mul_lo_u32 v2, v10, s33
	v_ashrrev_i32_e32 v0, 31, v9
	v_xor_b32_e32 v0, s2, v0
	v_xor_b32_e32 v1, v1, v0
	v_sub_u32_e32 v4, v1, v0
	v_sub_u32_e32 v1, v8, v2
	v_cmp_le_u32_e32 vcc, s33, v1
	v_subrev_u32_e32 v3, s33, v1
	v_cndmask_b32_e32 v1, v1, v3, vcc
	v_sub_u32_e32 v3, 2, v9
	v_max_i32_e32 v3, v11, v3
	v_mul_hi_u32 v8, v3, v13
	v_add_u32_e32 v2, 1, v10
	v_cndmask_b32_e32 v2, v10, v2, vcc
	v_add_u32_e32 v10, 1, v2
	v_cmp_le_u32_e32 vcc, s33, v1
	v_cndmask_b32_e32 v1, v2, v10, vcc
	v_mul_lo_u32 v2, v8, s1
	v_ashrrev_i32_e32 v0, 31, v5
	v_xor_b32_e32 v0, s6, v0
	v_xor_b32_e32 v1, v1, v0
	v_sub_u32_e32 v2, v3, v2
	v_add_u32_e32 v3, 1, v8
	v_cmp_le_u32_e32 vcc, s1, v2
	v_cndmask_b32_e32 v3, v8, v3, vcc
	v_subrev_u32_e32 v8, s1, v2
	v_cndmask_b32_e32 v2, v2, v8, vcc
	v_sub_u32_e32 v8, 1, v9
	v_max_i32_e32 v10, v12, v8
	v_mul_hi_u32 v13, v10, v13
	v_add_u32_e32 v8, 1, v3
	v_cmp_le_u32_e32 vcc, s1, v2
	v_cndmask_b32_e32 v2, v3, v8, vcc
	v_mul_lo_u32 v3, v13, s1
	v_sub_u32_e32 v1, v1, v0
	v_ashrrev_i32_e32 v0, 31, v11
	v_xor_b32_e32 v0, s2, v0
	v_xor_b32_e32 v2, v2, v0
	v_sub_u32_e32 v8, v2, v0
	v_sub_u32_e32 v0, v10, v3
	v_cmp_le_u32_e32 vcc, s1, v0
	v_subrev_u32_e32 v3, s1, v0
	v_cndmask_b32_e32 v0, v0, v3, vcc
	v_sub_u32_e32 v3, 2, v7
	v_add_u32_e32 v2, 1, v13
	v_max_i32_e32 v3, v14, v3
	v_cndmask_b32_e32 v2, v13, v2, vcc
	v_mul_hi_u32 v13, v3, v18
	v_add_u32_e32 v10, 1, v2
	v_cmp_le_u32_e32 vcc, s1, v0
	v_cndmask_b32_e32 v0, v2, v10, vcc
	v_mul_lo_u32 v16, v13, s0
	v_xor_b32_e32 v0, v0, v15
	v_sub_u32_e32 v10, v0, v15
	v_add_u32_e32 v2, 1, v13
	v_sub_u32_e32 v0, v3, v16
	v_sub_u32_e32 v3, 1, v7
	v_max_i32_e32 v3, v17, v3
	v_mul_hi_u32 v15, v3, v18
	v_cmp_le_u32_e32 vcc, s0, v0
	v_cndmask_b32_e32 v2, v13, v2, vcc
	v_subrev_u32_e32 v13, s0, v0
	v_cndmask_b32_e32 v0, v0, v13, vcc
	v_mul_lo_u32 v13, v15, s0
	v_add_u32_e32 v16, 1, v2
	v_cmp_le_u32_e32 vcc, s0, v0
	v_cndmask_b32_e32 v2, v2, v16, vcc
	v_sub_u32_e32 v0, v3, v13
	v_add_u32_e32 v3, 1, v15
	v_cmp_le_u32_e32 vcc, s0, v0
	v_subrev_u32_e32 v13, s0, v0
	v_cndmask_b32_e32 v3, v15, v3, vcc
	v_cndmask_b32_e32 v0, v0, v13, vcc
	v_add_u32_e32 v13, 1, v3
	v_cmp_le_u32_e32 vcc, s0, v0
	v_cndmask_b32_e32 v0, v3, v13, vcc
	v_add_u32_e32 v18, -1, v5
	v_sub_u32_e32 v13, 1, v5
	v_max_i32_e32 v13, v18, v13
	v_mul_hi_u32 v16, v13, v20
	v_ashrrev_i32_e32 v3, 31, v17
	v_xor_b32_e32 v3, s54, v3
	v_xor_b32_e32 v0, v0, v3
	v_sub_u32_e32 v15, v0, v3
	v_mul_lo_u32 v0, v16, s33
	v_or_b32_e32 v3, v1, v4
	v_or_b32_e32 v19, v3, v6
	v_cmp_lt_i32_e32 vcc, -1, v19
	v_sub_u32_e32 v0, v13, v0
	v_add_u32_e32 v13, 1, v16
	v_cmp_le_u32_e64 s[2:3], s33, v0
	v_cndmask_b32_e64 v13, v16, v13, s[2:3]
	v_subrev_u32_e32 v16, s33, v0
	v_cndmask_b32_e64 v0, v0, v16, s[2:3]
	v_cmp_le_u32_e64 s[2:3], s33, v0
	v_add_u32_e32 v0, -2, v5
	v_sub_u32_e32 v19, 2, v5
	v_max_i32_e32 v19, v0, v19
	v_add_u32_e32 v16, 1, v13
	v_mul_hi_u32 v20, v19, v20
	v_cndmask_b32_e64 v13, v13, v16, s[2:3]
	v_ashrrev_i32_e32 v16, 31, v18
	v_xor_b32_e32 v16, s6, v16
	v_xor_b32_e32 v13, v13, v16
	v_sub_u32_e32 v13, v13, v16
	v_mul_lo_u32 v16, v20, s33
	v_cmp_gt_i32_e64 s[30:31], s62, v4
	v_cmp_gt_i32_e64 s[34:35], s63, v1
	;; [unrolled: 1-line block ×3, first 2 shown]
	v_sub_u32_e32 v16, v19, v16
	v_add_u32_e32 v19, 1, v20
	v_cmp_le_u32_e64 s[4:5], s33, v16
	v_cndmask_b32_e64 v19, v20, v19, s[4:5]
	v_subrev_u32_e32 v20, s33, v16
	v_cndmask_b32_e64 v16, v16, v20, s[4:5]
	v_add_u32_e32 v20, 1, v19
	v_cmp_le_u32_e64 s[4:5], s33, v16
	v_cndmask_b32_e64 v16, v19, v20, s[4:5]
	v_ashrrev_i32_e32 v19, 31, v0
	v_xor_b32_e32 v19, s6, v19
	v_xor_b32_e32 v16, v16, v19
	v_sub_u32_e32 v16, v16, v19
	v_cmp_gt_i32_e64 s[38:39], s63, v16
	s_and_b64 s[52:53], s[34:35], s[30:31]
	s_and_b64 s[50:51], s[36:37], s[30:31]
	;; [unrolled: 1-line block ×3, first 2 shown]
	v_cmp_gt_i32_e64 s[30:31], s62, v10
	v_or_b32_e32 v22, v13, v4
	s_and_b64 s[46:47], s[34:35], s[30:31]
	s_and_b64 s[44:45], s[36:37], s[30:31]
	;; [unrolled: 1-line block ×3, first 2 shown]
	v_cmp_gt_i32_e64 s[30:31], s62, v8
	v_or_b32_e32 v21, v22, v6
	s_and_b64 s[40:41], s[34:35], s[30:31]
	s_and_b64 s[34:35], s[36:37], s[30:31]
	;; [unrolled: 1-line block ×3, first 2 shown]
	v_cmp_gt_i32_e64 s[30:31], s61, v6
	s_and_b64 s[36:37], s[52:53], vcc
	v_cmp_lt_i32_e64 s[2:3], -1, v21
	s_and_b64 s[36:37], s[36:37], s[30:31]
	v_or_b32_e32 v25, v16, v4
	v_writelane_b32 v62, s36, 50
	s_and_b64 s[2:3], s[50:51], s[2:3]
	v_or_b32_e32 v19, v25, v6
	v_writelane_b32 v62, s37, 51
	s_and_b64 s[2:3], s[2:3], s[30:31]
	v_cmp_lt_i32_e64 s[4:5], -1, v19
	v_writelane_b32 v62, s2, 52
	v_or_b32_e32 v23, v1, v10
	v_writelane_b32 v62, s3, 53
	s_and_b64 s[2:3], s[48:49], s[4:5]
	v_or_b32_e32 v19, v23, v6
	s_and_b64 s[2:3], s[2:3], s[30:31]
	v_cmp_lt_i32_e64 s[6:7], -1, v19
	v_writelane_b32 v62, s2, 54
	v_or_b32_e32 v26, v13, v10
	v_writelane_b32 v62, s3, 55
	s_and_b64 s[2:3], s[46:47], s[6:7]
	v_or_b32_e32 v19, v26, v6
	;; [unrolled: 7-line block ×6, first 2 shown]
	s_and_b64 s[2:3], s[2:3], s[30:31]
	v_cmp_lt_i32_e64 s[16:17], -1, v27
	v_writelane_b32 v63, s2, 0
	v_writelane_b32 v63, s3, 1
	s_and_b64 s[2:3], s[0:1], s[16:17]
	v_or_b32_e32 v27, v3, v15
	s_and_b64 s[2:3], s[2:3], s[30:31]
	v_cmp_lt_i32_e64 s[18:19], -1, v27
	v_writelane_b32 v63, s2, 2
	v_writelane_b32 v63, s3, 3
	v_cmp_gt_i32_e64 s[2:3], s61, v15
	s_and_b64 s[4:5], s[52:53], s[18:19]
	v_or_b32_e32 v27, v22, v15
	s_and_b64 s[4:5], s[4:5], s[2:3]
	v_cmp_lt_i32_e64 s[20:21], -1, v27
	v_or_b32_e32 v27, v25, v15
	v_writelane_b32 v63, s4, 4
	v_cmp_lt_i32_e64 s[22:23], -1, v27
	v_writelane_b32 v63, s5, 5
	s_and_b64 s[4:5], s[50:51], s[20:21]
	s_and_b64 s[58:59], s[4:5], s[2:3]
	s_and_b64 s[4:5], s[48:49], s[22:23]
	v_or_b32_e32 v27, v23, v15
	s_and_b64 s[4:5], s[4:5], s[2:3]
	v_cmp_lt_i32_e64 s[24:25], -1, v27
	v_or_b32_e32 v27, v26, v15
	v_writelane_b32 v63, s4, 6
	v_cmp_lt_i32_e64 s[26:27], -1, v27
	v_or_b32_e32 v27, v24, v15
	v_writelane_b32 v63, s5, 7
	s_and_b64 s[4:5], s[46:47], s[24:25]
	v_cmp_lt_i32_e64 s[28:29], -1, v27
	v_or_b32_e32 v27, v19, v15
	s_and_b64 s[72:73], s[4:5], s[2:3]
	s_and_b64 s[4:5], s[44:45], s[26:27]
	v_cmp_lt_i32_e32 vcc, -1, v27
	v_or_b32_e32 v27, v20, v15
	s_and_b64 s[74:75], s[4:5], s[2:3]
	s_and_b64 s[4:5], s[42:43], s[28:29]
	;; [unrolled: 1-line block ×3, first 2 shown]
	s_and_b64 s[4:5], s[40:41], vcc
	v_cmp_lt_i32_e32 vcc, -1, v27
	v_ashrrev_i32_e32 v27, 31, v14
	v_xor_b32_e32 v27, s54, v27
	v_xor_b32_e32 v2, v2, v27
	v_or_b32_e32 v28, v21, v15
	v_sub_u32_e32 v27, v2, v27
	s_and_b64 s[70:71], s[4:5], s[2:3]
	s_and_b64 s[4:5], s[34:35], vcc
	v_cmp_lt_i32_e32 vcc, -1, v28
	v_or_b32_e32 v2, v3, v27
	s_and_b64 s[88:89], s[4:5], s[2:3]
	s_and_b64 s[4:5], s[0:1], vcc
	v_cmp_lt_i32_e32 vcc, -1, v2
	v_or_b32_e32 v2, v22, v27
	v_readlane_b32 s60, v62, 16
	s_and_b64 s[8:9], s[52:53], vcc
	v_cmp_lt_i32_e32 vcc, -1, v2
	v_or_b32_e32 v2, v25, v27
	v_mul_lo_u32 v60, v58, s60
	s_and_b64 s[10:11], s[50:51], vcc
	v_cmp_lt_i32_e32 vcc, -1, v2
	v_or_b32_e32 v2, v23, v27
	s_and_b64 s[12:13], s[48:49], vcc
	v_cmp_lt_i32_e32 vcc, -1, v2
	v_or_b32_e32 v2, v26, v27
	s_and_b64 s[64:65], s[4:5], s[2:3]
	s_and_b64 s[14:15], s[46:47], vcc
	v_cmp_lt_i32_e32 vcc, -1, v2
	v_or_b32_e32 v2, v24, v27
	v_readlane_b32 s2, v62, 17
	s_and_b64 s[16:17], s[44:45], vcc
	v_cmp_lt_i32_e32 vcc, -1, v2
	v_mul_lo_u32 v2, s2, v60
	v_readlane_b32 s2, v62, 46
	v_mul_lo_u32 v22, s2, v29
	v_readlane_b32 s4, v62, 20
	v_ashrrev_i32_e32 v3, 31, v2
	v_lshlrev_b64 v[2:3], 2, v[2:3]
	v_readlane_b32 s5, v62, 21
	s_and_b64 s[18:19], s[42:43], vcc
	v_mov_b32_e32 v23, s5
	v_add_co_u32_e32 v2, vcc, s4, v2
	v_readlane_b32 s3, v62, 47
	v_addc_co_u32_e32 v3, vcc, v23, v3, vcc
	v_ashrrev_i32_e32 v23, 31, v22
	v_readlane_b32 s2, v62, 7
	v_mul_lo_u32 v25, v6, s84
	v_lshlrev_b64 v[22:23], 2, v[22:23]
	v_readlane_b32 s3, v62, 8
	v_mov_b32_e32 v24, s3
	v_mul_lo_u32 v26, v4, s85
	v_mul_lo_u32 v28, v10, s85
	;; [unrolled: 1-line block ×3, first 2 shown]
	v_add_co_u32_e32 v22, vcc, s2, v22
	v_mul_lo_u32 v30, v15, s84
	buffer_store_dword v22, off, s[96:99], 0 offset:4 ; 4-byte Folded Spill
	v_addc_co_u32_e32 v22, vcc, v24, v23, vcc
	v_cmp_eq_u32_e32 vcc, v25, v7
	v_mul_lo_u32 v7, v27, s84
	v_cmp_eq_u32_e64 s[2:3], v26, v9
	v_cmp_eq_u32_e64 s[4:5], v28, v12
	;; [unrolled: 1-line block ×3, first 2 shown]
	s_and_b64 s[20:21], vcc, s[2:3]
	s_and_b64 s[22:23], vcc, s[4:5]
	s_and_b64 s[24:25], vcc, s[6:7]
	v_cmp_eq_u32_e32 vcc, v30, v17
	v_mul_lo_u32 v11, v16, s86
	s_and_b64 s[26:27], vcc, s[2:3]
	s_and_b64 s[30:31], vcc, s[4:5]
	;; [unrolled: 1-line block ×3, first 2 shown]
	v_cmp_eq_u32_e32 vcc, v7, v14
	v_or_b32_e32 v7, v19, v27
	s_and_b64 s[44:45], vcc, s[2:3]
	s_and_b64 s[50:51], vcc, s[4:5]
	;; [unrolled: 1-line block ×3, first 2 shown]
	v_cmp_lt_i32_e32 vcc, -1, v7
	v_or_b32_e32 v7, v20, v27
	s_and_b64 s[2:3], s[40:41], vcc
	v_cmp_lt_i32_e32 vcc, -1, v7
	v_or_b32_e32 v7, v21, v27
	s_and_b64 s[4:5], s[34:35], vcc
	v_cmp_lt_i32_e32 vcc, -1, v7
	v_mul_lo_u32 v7, v1, s86
	v_cmp_eq_u32_e64 s[56:57], v11, v0
	v_mul_lo_u32 v0, v6, s62
	s_and_b64 s[6:7], s[0:1], vcc
	v_cmp_gt_i32_e32 vcc, s61, v27
	s_and_b64 s[66:67], s[8:9], vcc
	s_and_b64 s[82:83], s[10:11], vcc
	;; [unrolled: 1-line block ×9, first 2 shown]
	v_mul_lo_u32 v9, v13, s86
	v_cmp_eq_u32_e32 vcc, v7, v5
	v_add_u32_e32 v5, v4, v0
	v_mul_lo_u32 v7, v5, s63
	v_cmp_eq_u32_e64 s[54:55], v9, v18
	v_add_u32_e32 v9, v10, v0
	v_add_u32_e32 v0, v8, v0
	;; [unrolled: 1-line block ×5, first 2 shown]
	v_mul_lo_u32 v0, v0, s63
	v_mul_lo_u32 v7, v15, s62
	;; [unrolled: 1-line block ×3, first 2 shown]
	v_ashrrev_i32_e32 v6, 31, v5
	v_add_u32_e32 v14, v1, v0
	v_add_u32_e32 v25, v13, v0
	;; [unrolled: 1-line block ×4, first 2 shown]
	v_mul_lo_u32 v0, v0, s63
	v_add_u32_e32 v19, v1, v9
	v_add_u32_e32 v21, v13, v9
	;; [unrolled: 1-line block ×6, first 2 shown]
	v_mul_lo_u32 v0, v27, s62
	v_add_u32_e32 v9, v4, v7
	v_add_u32_e32 v7, v8, v7
	v_mul_lo_u32 v7, v7, s63
	v_add_u32_e32 v4, v4, v0
	v_mul_lo_u32 v4, v4, s63
	v_mul_lo_u32 v9, v9, s63
	v_add_u32_e32 v42, v1, v7
	v_add_u32_e32 v44, v13, v7
	;; [unrolled: 1-line block ×7, first 2 shown]
	v_mul_lo_u32 v27, v7, s63
	v_add_u32_e32 v7, v16, v4
	v_mul_lo_u32 v4, v0, s63
	v_add_u32_e32 v32, v13, v9
	v_add_u32_e32 v52, v13, v27
	buffer_store_dword v22, off, s[96:99], 0 offset:8 ; 4-byte Folded Spill
	v_add_u32_e32 v0, v1, v4
	v_add_u32_e32 v56, v13, v4
	v_mov_b32_e32 v13, v58
	v_add_u32_e32 v58, v16, v4
	v_lshlrev_b64 v[4:5], 2, v[5:6]
	v_ashrrev_i32_e32 v12, 31, v11
	buffer_store_dword v4, off, s[96:99], 0 offset:16 ; 4-byte Folded Spill
	s_nop 0
	buffer_store_dword v5, off, s[96:99], 0 offset:20 ; 4-byte Folded Spill
	v_lshlrev_b64 v[4:5], 2, v[11:12]
	v_ashrrev_i32_e32 v18, 31, v17
	buffer_store_dword v4, off, s[96:99], 0 offset:24 ; 4-byte Folded Spill
	s_nop 0
	buffer_store_dword v5, off, s[96:99], 0 offset:28 ; 4-byte Folded Spill
	;; [unrolled: 5-line block ×8, first 2 shown]
	v_lshlrev_b64 v[4:5], 2, v[28:29]
	v_add_u32_e32 v30, v1, v9
	v_ashrrev_i32_e32 v31, 31, v30
	buffer_store_dword v4, off, s[96:99], 0 offset:80 ; 4-byte Folded Spill
	s_nop 0
	buffer_store_dword v5, off, s[96:99], 0 offset:84 ; 4-byte Folded Spill
	v_lshlrev_b64 v[4:5], 2, v[30:31]
	v_ashrrev_i32_e32 v33, 31, v32
	buffer_store_dword v4, off, s[96:99], 0 offset:88 ; 4-byte Folded Spill
	s_nop 0
	buffer_store_dword v5, off, s[96:99], 0 offset:92 ; 4-byte Folded Spill
	v_lshlrev_b64 v[4:5], 2, v[32:33]
	v_add_u32_e32 v34, v16, v9
	v_ashrrev_i32_e32 v35, 31, v34
	buffer_store_dword v4, off, s[96:99], 0 offset:96 ; 4-byte Folded Spill
	s_nop 0
	buffer_store_dword v5, off, s[96:99], 0 offset:100 ; 4-byte Folded Spill
	v_lshlrev_b64 v[4:5], 2, v[34:35]
	v_ashrrev_i32_e32 v37, 31, v36
	buffer_store_dword v4, off, s[96:99], 0 offset:104 ; 4-byte Folded Spill
	s_nop 0
	buffer_store_dword v5, off, s[96:99], 0 offset:108 ; 4-byte Folded Spill
	v_lshlrev_b64 v[4:5], 2, v[36:37]
	;; [unrolled: 5-line block ×10, first 2 shown]
	v_add_u32_e32 v9, v1, v27
	v_ashrrev_i32_e32 v10, 31, v9
	buffer_store_dword v4, off, s[96:99], 0 offset:176 ; 4-byte Folded Spill
	s_nop 0
	buffer_store_dword v5, off, s[96:99], 0 offset:180 ; 4-byte Folded Spill
	v_lshlrev_b64 v[4:5], 2, v[9:10]
	v_ashrrev_i32_e32 v53, 31, v52
	buffer_store_dword v4, off, s[96:99], 0 offset:184 ; 4-byte Folded Spill
	s_nop 0
	buffer_store_dword v5, off, s[96:99], 0 offset:188 ; 4-byte Folded Spill
	v_lshlrev_b64 v[4:5], 2, v[52:53]
	v_add_u32_e32 v54, v16, v27
	v_ashrrev_i32_e32 v55, 31, v54
	v_ashrrev_i32_e32 v1, 31, v0
	buffer_store_dword v4, off, s[96:99], 0 offset:192 ; 4-byte Folded Spill
	s_nop 0
	buffer_store_dword v5, off, s[96:99], 0 offset:196 ; 4-byte Folded Spill
	v_lshlrev_b64 v[4:5], 2, v[54:55]
	v_lshlrev_b64 v[0:1], 2, v[0:1]
	v_ashrrev_i32_e32 v57, 31, v56
	buffer_store_dword v4, off, s[96:99], 0 offset:200 ; 4-byte Folded Spill
	s_nop 0
	buffer_store_dword v5, off, s[96:99], 0 offset:204 ; 4-byte Folded Spill
	buffer_store_dword v0, off, s[96:99], 0 offset:208 ; 4-byte Folded Spill
	s_nop 0
	buffer_store_dword v1, off, s[96:99], 0 offset:212 ; 4-byte Folded Spill
	v_lshlrev_b64 v[0:1], 2, v[56:57]
	v_readlane_b32 s62, v62, 46
	v_ashrrev_i32_e32 v59, 31, v58
	buffer_store_dword v0, off, s[96:99], 0 offset:216 ; 4-byte Folded Spill
	s_nop 0
	buffer_store_dword v1, off, s[96:99], 0 offset:220 ; 4-byte Folded Spill
	v_readlane_b32 s63, v62, 47
	s_and_b64 s[2:3], s[20:21], vcc
	s_and_b64 s[4:5], s[20:21], s[54:55]
	s_and_b64 s[6:7], s[20:21], s[56:57]
	s_and_b64 s[8:9], s[22:23], vcc
	s_and_b64 s[10:11], s[22:23], s[54:55]
	s_and_b64 s[12:13], s[22:23], s[56:57]
	;; [unrolled: 3-line block ×9, first 2 shown]
	v_lshlrev_b64 v[0:1], 2, v[58:59]
	s_mul_i32 s84, s63, s60
	v_mul_lo_u32 v58, s84, v13
	buffer_store_dword v0, off, s[96:99], 0 offset:224 ; 4-byte Folded Spill
	s_nop 0
	buffer_store_dword v1, off, s[96:99], 0 offset:228 ; 4-byte Folded Spill
	v_add_u32_e32 v0, s60, v60
	v_readlane_b32 s62, v62, 50
	v_readlane_b32 s60, v62, 46
	s_mov_b64 s[86:87], 0
	v_mov_b32_e32 v1, 0
	v_readlane_b32 s63, v62, 51
	v_readlane_b32 s61, v62, 47
	buffer_store_dword v0, off, s[96:99], 0 offset:12 ; 4-byte Folded Spill
	buffer_store_dword v13, off, s[96:99], 0 offset:252 ; 4-byte Folded Spill
	s_branch .LBB18_5
.LBB18_4:                               ;   in Loop: Header=BB18_5 Depth=2
	s_or_b64 exec, exec, s[84:85]
	v_fma_f32 v0, v0, v59, v1
	v_cndmask_b32_e64 v0, v1, v0, s[2:3]
	buffer_load_dword v1, off, s[96:99], 0  ; 4-byte Folded Reload
	v_add_co_u32_e32 v2, vcc, 0x6c, v2
	v_addc_co_u32_e32 v3, vcc, 0, v3, vcc
	v_add_u32_e32 v60, 1, v60
	v_add_u32_e32 v58, s61, v58
	s_waitcnt vmcnt(0)
	v_fma_f32 v1, v1, v8, v0
	v_cndmask_b32_e64 v0, v0, v1, s[4:5]
	v_fma_f32 v1, v61, v7, v0
	v_cndmask_b32_e64 v0, v0, v1, s[6:7]
	;; [unrolled: 2-line block ×26, first 2 shown]
	buffer_load_dword v0, off, s[96:99], 0 offset:12 ; 4-byte Folded Reload
	s_waitcnt vmcnt(0)
	v_cmp_ge_i32_e32 vcc, v60, v0
	s_or_b64 s[86:87], vcc, s[86:87]
	s_andn2_b64 exec, exec, s[86:87]
	s_cbranch_execz .LBB18_59
.LBB18_5:                               ;   Parent Loop BB18_2 Depth=1
                                        ; =>  This Inner Loop Header: Depth=2
	buffer_load_dword v6, off, s[96:99], 0 offset:4 ; 4-byte Folded Reload
	v_ashrrev_i32_e32 v59, 31, v58
	v_lshlrev_b64 v[4:5], 2, v[58:59]
	global_load_dword v0, v[2:3], off
	v_mov_b32_e32 v59, 0
	s_waitcnt vmcnt(1)
	v_add_co_u32_e32 v4, vcc, v6, v4
	buffer_load_dword v6, off, s[96:99], 0 offset:8 ; 4-byte Folded Reload
	s_waitcnt vmcnt(0)
	v_addc_co_u32_e32 v5, vcc, v6, v5, vcc
	s_and_saveexec_b64 s[84:85], s[62:63]
	s_cbranch_execz .LBB18_7
; %bb.6:                                ;   in Loop: Header=BB18_5 Depth=2
	buffer_load_dword v6, off, s[96:99], 0 offset:16 ; 4-byte Folded Reload
	buffer_load_dword v7, off, s[96:99], 0 offset:20 ; 4-byte Folded Reload
	s_waitcnt vmcnt(1)
	v_add_co_u32_e32 v6, vcc, v4, v6
	s_waitcnt vmcnt(0)
	v_addc_co_u32_e32 v7, vcc, v5, v7, vcc
	global_load_dword v59, v[6:7], off
.LBB18_7:                               ;   in Loop: Header=BB18_5 Depth=2
	s_or_b64 exec, exec, s[84:85]
	global_load_dword v6, v[2:3], off offset:4
	v_mov_b32_e32 v7, 0
	v_mov_b32_e32 v8, 0
	s_waitcnt vmcnt(0)
	buffer_store_dword v6, off, s[96:99], 0 ; 4-byte Folded Spill
	s_mov_b64 s[84:85], exec
	v_readlane_b32 vcc_lo, v62, 52
	v_readlane_b32 vcc_hi, v62, 53
	s_and_b64 vcc, s[84:85], vcc
	s_mov_b64 exec, vcc
	s_cbranch_execz .LBB18_9
; %bb.8:                                ;   in Loop: Header=BB18_5 Depth=2
	buffer_load_dword v8, off, s[96:99], 0 offset:24 ; 4-byte Folded Reload
	buffer_load_dword v9, off, s[96:99], 0 offset:28 ; 4-byte Folded Reload
	s_waitcnt vmcnt(1)
	v_add_co_u32_e32 v8, vcc, v4, v8
	s_waitcnt vmcnt(0)
	v_addc_co_u32_e32 v9, vcc, v5, v9, vcc
	global_load_dword v8, v[8:9], off
.LBB18_9:                               ;   in Loop: Header=BB18_5 Depth=2
	s_or_b64 exec, exec, s[84:85]
	global_load_dword v61, v[2:3], off offset:8
	s_mov_b64 s[84:85], exec
	v_readlane_b32 vcc_lo, v62, 54
	v_readlane_b32 vcc_hi, v62, 55
	s_and_b64 vcc, s[84:85], vcc
	s_mov_b64 exec, vcc
	s_cbranch_execz .LBB18_11
; %bb.10:                               ;   in Loop: Header=BB18_5 Depth=2
	buffer_load_dword v10, off, s[96:99], 0 offset:32 ; 4-byte Folded Reload
	buffer_load_dword v11, off, s[96:99], 0 offset:36 ; 4-byte Folded Reload
	s_waitcnt vmcnt(1)
	v_add_co_u32_e32 v10, vcc, v4, v10
	s_waitcnt vmcnt(0)
	v_addc_co_u32_e32 v11, vcc, v5, v11, vcc
	global_load_dword v7, v[10:11], off
.LBB18_11:                              ;   in Loop: Header=BB18_5 Depth=2
	s_or_b64 exec, exec, s[84:85]
	global_load_dword v6, v[2:3], off offset:12
	v_mov_b32_e32 v11, 0
	v_mov_b32_e32 v12, 0
	s_mov_b64 s[84:85], exec
	v_readlane_b32 vcc_lo, v62, 56
	v_readlane_b32 vcc_hi, v62, 57
	s_and_b64 vcc, s[84:85], vcc
	s_mov_b64 exec, vcc
	s_cbranch_execz .LBB18_13
; %bb.12:                               ;   in Loop: Header=BB18_5 Depth=2
	buffer_load_dword v12, off, s[96:99], 0 offset:40 ; 4-byte Folded Reload
	buffer_load_dword v13, off, s[96:99], 0 offset:44 ; 4-byte Folded Reload
	s_waitcnt vmcnt(1)
	v_add_co_u32_e32 v12, vcc, v4, v12
	s_waitcnt vmcnt(0)
	v_addc_co_u32_e32 v13, vcc, v5, v13, vcc
	global_load_dword v12, v[12:13], off
.LBB18_13:                              ;   in Loop: Header=BB18_5 Depth=2
	s_or_b64 exec, exec, s[84:85]
	global_load_dword v13, v[2:3], off offset:16
	s_mov_b64 s[84:85], exec
	v_readlane_b32 vcc_lo, v62, 58
	v_readlane_b32 vcc_hi, v62, 59
	s_and_b64 vcc, s[84:85], vcc
	s_mov_b64 exec, vcc
	s_cbranch_execz .LBB18_15
; %bb.14:                               ;   in Loop: Header=BB18_5 Depth=2
	buffer_load_dword v14, off, s[96:99], 0 offset:48 ; 4-byte Folded Reload
	buffer_load_dword v15, off, s[96:99], 0 offset:52 ; 4-byte Folded Reload
	s_waitcnt vmcnt(1)
	v_add_co_u32_e32 v14, vcc, v4, v14
	s_waitcnt vmcnt(0)
	v_addc_co_u32_e32 v15, vcc, v5, v15, vcc
	global_load_dword v11, v[14:15], off
.LBB18_15:                              ;   in Loop: Header=BB18_5 Depth=2
	s_or_b64 exec, exec, s[84:85]
	global_load_dword v14, v[2:3], off offset:20
	v_mov_b32_e32 v15, 0
	v_mov_b32_e32 v16, 0
	s_mov_b64 s[84:85], exec
	v_readlane_b32 vcc_lo, v62, 60
	v_readlane_b32 vcc_hi, v62, 61
	s_and_b64 vcc, s[84:85], vcc
	s_mov_b64 exec, vcc
	s_cbranch_execz .LBB18_17
; %bb.16:                               ;   in Loop: Header=BB18_5 Depth=2
	buffer_load_dword v16, off, s[96:99], 0 offset:56 ; 4-byte Folded Reload
	buffer_load_dword v17, off, s[96:99], 0 offset:60 ; 4-byte Folded Reload
	s_waitcnt vmcnt(1)
	v_add_co_u32_e32 v16, vcc, v4, v16
	s_waitcnt vmcnt(0)
	v_addc_co_u32_e32 v17, vcc, v5, v17, vcc
	global_load_dword v16, v[16:17], off
.LBB18_17:                              ;   in Loop: Header=BB18_5 Depth=2
	;; [unrolled: 36-line block ×4, first 2 shown]
	s_or_b64 exec, exec, s[84:85]
	global_load_dword v25, v[2:3], off offset:40
	s_and_saveexec_b64 s[84:85], s[58:59]
	s_cbranch_execz .LBB18_27
; %bb.26:                               ;   in Loop: Header=BB18_5 Depth=2
	buffer_load_dword v26, off, s[96:99], 0 offset:96 ; 4-byte Folded Reload
	buffer_load_dword v27, off, s[96:99], 0 offset:100 ; 4-byte Folded Reload
	s_waitcnt vmcnt(1)
	v_add_co_u32_e32 v26, vcc, v4, v26
	s_waitcnt vmcnt(0)
	v_addc_co_u32_e32 v27, vcc, v5, v27, vcc
	global_load_dword v23, v[26:27], off
.LBB18_27:                              ;   in Loop: Header=BB18_5 Depth=2
	s_or_b64 exec, exec, s[84:85]
	global_load_dword v26, v[2:3], off offset:44
	v_mov_b32_e32 v27, 0
	v_mov_b32_e32 v28, 0
	s_mov_b64 s[84:85], exec
	v_readlane_b32 vcc_lo, v63, 6
	v_readlane_b32 vcc_hi, v63, 7
	s_and_b64 vcc, s[84:85], vcc
	s_mov_b64 exec, vcc
	s_cbranch_execz .LBB18_29
; %bb.28:                               ;   in Loop: Header=BB18_5 Depth=2
	buffer_load_dword v28, off, s[96:99], 0 offset:104 ; 4-byte Folded Reload
	buffer_load_dword v29, off, s[96:99], 0 offset:108 ; 4-byte Folded Reload
	s_waitcnt vmcnt(1)
	v_add_co_u32_e32 v28, vcc, v4, v28
	s_waitcnt vmcnt(0)
	v_addc_co_u32_e32 v29, vcc, v5, v29, vcc
	global_load_dword v28, v[28:29], off
.LBB18_29:                              ;   in Loop: Header=BB18_5 Depth=2
	s_or_b64 exec, exec, s[84:85]
	global_load_dword v29, v[2:3], off offset:48
	s_and_saveexec_b64 s[84:85], s[72:73]
	s_cbranch_execz .LBB18_31
; %bb.30:                               ;   in Loop: Header=BB18_5 Depth=2
	buffer_load_dword v30, off, s[96:99], 0 offset:112 ; 4-byte Folded Reload
	buffer_load_dword v31, off, s[96:99], 0 offset:116 ; 4-byte Folded Reload
	s_waitcnt vmcnt(1)
	v_add_co_u32_e32 v30, vcc, v4, v30
	s_waitcnt vmcnt(0)
	v_addc_co_u32_e32 v31, vcc, v5, v31, vcc
	global_load_dword v27, v[30:31], off
.LBB18_31:                              ;   in Loop: Header=BB18_5 Depth=2
	s_or_b64 exec, exec, s[84:85]
	global_load_dword v30, v[2:3], off offset:52
	v_mov_b32_e32 v31, 0
	v_mov_b32_e32 v32, 0
	s_and_saveexec_b64 s[84:85], s[74:75]
	s_cbranch_execz .LBB18_33
; %bb.32:                               ;   in Loop: Header=BB18_5 Depth=2
	buffer_load_dword v32, off, s[96:99], 0 offset:120 ; 4-byte Folded Reload
	buffer_load_dword v33, off, s[96:99], 0 offset:124 ; 4-byte Folded Reload
	s_waitcnt vmcnt(1)
	v_add_co_u32_e32 v32, vcc, v4, v32
	s_waitcnt vmcnt(0)
	v_addc_co_u32_e32 v33, vcc, v5, v33, vcc
	global_load_dword v32, v[32:33], off
.LBB18_33:                              ;   in Loop: Header=BB18_5 Depth=2
	s_or_b64 exec, exec, s[84:85]
	global_load_dword v33, v[2:3], off offset:56
	s_and_saveexec_b64 s[84:85], s[68:69]
	s_cbranch_execz .LBB18_35
; %bb.34:                               ;   in Loop: Header=BB18_5 Depth=2
	buffer_load_dword v34, off, s[96:99], 0 offset:128 ; 4-byte Folded Reload
	buffer_load_dword v35, off, s[96:99], 0 offset:132 ; 4-byte Folded Reload
	s_waitcnt vmcnt(1)
	v_add_co_u32_e32 v34, vcc, v4, v34
	s_waitcnt vmcnt(0)
	v_addc_co_u32_e32 v35, vcc, v5, v35, vcc
	global_load_dword v31, v[34:35], off
.LBB18_35:                              ;   in Loop: Header=BB18_5 Depth=2
	s_or_b64 exec, exec, s[84:85]
	global_load_dword v34, v[2:3], off offset:60
	v_mov_b32_e32 v35, 0
	v_mov_b32_e32 v36, 0
	s_and_saveexec_b64 s[84:85], s[70:71]
	;; [unrolled: 28-line block ×7, first 2 shown]
	s_cbranch_execz .LBB18_57
; %bb.56:                               ;   in Loop: Header=BB18_5 Depth=2
	buffer_load_dword v56, off, s[96:99], 0 offset:216 ; 4-byte Folded Reload
	buffer_load_dword v57, off, s[96:99], 0 offset:220 ; 4-byte Folded Reload
	s_waitcnt vmcnt(1)
	v_add_co_u32_e32 v56, vcc, v4, v56
	s_waitcnt vmcnt(0)
	v_addc_co_u32_e32 v57, vcc, v5, v57, vcc
	global_load_dword v56, v[56:57], off
.LBB18_57:                              ;   in Loop: Header=BB18_5 Depth=2
	s_or_b64 exec, exec, s[84:85]
	global_load_dword v57, v[2:3], off offset:104
	s_and_saveexec_b64 s[84:85], s[80:81]
	s_cbranch_execz .LBB18_4
; %bb.58:                               ;   in Loop: Header=BB18_5 Depth=2
	buffer_load_dword v9, off, s[96:99], 0 offset:224 ; 4-byte Folded Reload
	buffer_load_dword v10, off, s[96:99], 0 offset:228 ; 4-byte Folded Reload
	s_waitcnt vmcnt(1)
	v_add_co_u32_e32 v4, vcc, v4, v9
	s_waitcnt vmcnt(0)
	v_addc_co_u32_e32 v5, vcc, v5, v10, vcc
	global_load_dword v55, v[4:5], off
	s_branch .LBB18_4
.LBB18_59:                              ;   in Loop: Header=BB18_2 Depth=1
	s_or_b64 exec, exec, s[86:87]
	buffer_load_dword v10, off, s[96:99], 0 offset:240 ; 4-byte Folded Reload
	buffer_load_dword v8, off, s[96:99], 0 offset:244 ; 4-byte Folded Reload
	;; [unrolled: 1-line block ×5, first 2 shown]
	v_readlane_b32 s16, v62, 44
	v_readlane_b32 s17, v62, 45
	s_branch .LBB18_61
.LBB18_60:                              ;   in Loop: Header=BB18_2 Depth=1
	v_mov_b32_e32 v1, 0
.LBB18_61:                              ;   in Loop: Header=BB18_2 Depth=1
	v_readlane_b32 s8, v62, 48
	v_readlane_b32 s9, v62, 49
; %bb.62:                               ;   in Loop: Header=BB18_2 Depth=1
	s_waitcnt vmcnt(0)
	v_mul_lo_u32 v2, v29, s17
	v_readlane_b32 s4, v62, 22
	v_mul_lo_u32 v4, s4, v58
	v_readlane_b32 s0, v62, 18
	v_ashrrev_i32_e32 v3, 31, v2
	v_lshlrev_b64 v[2:3], 2, v[2:3]
	v_readlane_b32 s1, v62, 19
	v_mov_b32_e32 v0, s1
	v_readlane_b32 s5, v62, 23
	v_add_co_u32_e32 v6, vcc, s0, v2
	v_ashrrev_i32_e32 v5, 31, v4
	v_addc_co_u32_e32 v0, vcc, v0, v3, vcc
	v_lshlrev_b64 v[2:3], 2, v[4:5]
	v_mul_lo_u32 v4, s5, v7
	v_readlane_b32 s6, v62, 24
	v_add_co_u32_e32 v6, vcc, v6, v2
	v_ashrrev_i32_e32 v5, 31, v4
	v_addc_co_u32_e32 v0, vcc, v0, v3, vcc
	v_lshlrev_b64 v[2:3], 2, v[4:5]
	v_mul_lo_u32 v4, s6, v8
	;; [unrolled: 6-line block ×3, first 2 shown]
	v_add_co_u32_e32 v6, vcc, v6, v2
	v_addc_co_u32_e32 v0, vcc, v0, v3, vcc
	v_ashrrev_i32_e32 v5, 31, v4
	v_lshlrev_b64 v[2:3], 2, v[4:5]
	buffer_load_dword v4, off, s[96:99], 0 offset:232 ; 4-byte Folded Reload
	buffer_load_dword v5, off, s[96:99], 0 offset:236 ; 4-byte Folded Reload
	v_readlane_b32 s0, v62, 26
	v_add_co_u32_e64 v2, s[2:3], v6, v2
	v_addc_co_u32_e64 v3, s[2:3], v0, v3, s[2:3]
	global_store_dword v[2:3], v1, off
	s_waitcnt vmcnt(2)
	v_add_co_u32_e32 v4, vcc, s0, v4
	v_readlane_b32 s0, v62, 5
	s_waitcnt vmcnt(1)
	v_addc_co_u32_e32 v5, vcc, 0, v5, vcc
	v_readlane_b32 s1, v62, 6
	v_cmp_le_i64_e32 vcc, s[0:1], v[4:5]
	s_or_b64 s[8:9], vcc, s[8:9]
	s_andn2_b64 exec, exec, s[8:9]
	s_cbranch_execnz .LBB18_2
.LBB18_63:
	s_endpgm
	.section	.rodata,"a",@progbits
	.p2align	6, 0x0
	.amdhsa_kernel _ZN2at6native12_GLOBAL__N_143conv_depthwise3d_cuda_backward_input_kernelIffLi3ELi3ELi3ELi1ELi1ELi1ELin1ELin1ELin1EEEvN5torch10headeronly6detail27GenericPackedTensorAccessorINS5_14TensorAccessorIN3c108ArrayRefIlEEKT_Lm4ENS4_16DefaultPtrTraitsEiEENS_6detail16IndexBoundsCheckILm5EiEESC_Lm5ESD_iEENS6_INS7_ISA_SB_Lm4ESD_iEESH_SB_Lm5ESD_iEESI_iiiiiiiii
		.amdhsa_group_segment_fixed_size 0
		.amdhsa_private_segment_fixed_size 292
		.amdhsa_kernarg_size 440
		.amdhsa_user_sgpr_count 6
		.amdhsa_user_sgpr_private_segment_buffer 1
		.amdhsa_user_sgpr_dispatch_ptr 0
		.amdhsa_user_sgpr_queue_ptr 0
		.amdhsa_user_sgpr_kernarg_segment_ptr 1
		.amdhsa_user_sgpr_dispatch_id 0
		.amdhsa_user_sgpr_flat_scratch_init 0
		.amdhsa_user_sgpr_private_segment_size 0
		.amdhsa_uses_dynamic_stack 0
		.amdhsa_system_sgpr_private_segment_wavefront_offset 1
		.amdhsa_system_sgpr_workgroup_id_x 1
		.amdhsa_system_sgpr_workgroup_id_y 0
		.amdhsa_system_sgpr_workgroup_id_z 0
		.amdhsa_system_sgpr_workgroup_info 0
		.amdhsa_system_vgpr_workitem_id 0
		.amdhsa_next_free_vgpr 64
		.amdhsa_next_free_sgpr 100
		.amdhsa_reserve_vcc 1
		.amdhsa_reserve_flat_scratch 0
		.amdhsa_float_round_mode_32 0
		.amdhsa_float_round_mode_16_64 0
		.amdhsa_float_denorm_mode_32 3
		.amdhsa_float_denorm_mode_16_64 3
		.amdhsa_dx10_clamp 1
		.amdhsa_ieee_mode 1
		.amdhsa_fp16_overflow 0
		.amdhsa_exception_fp_ieee_invalid_op 0
		.amdhsa_exception_fp_denorm_src 0
		.amdhsa_exception_fp_ieee_div_zero 0
		.amdhsa_exception_fp_ieee_overflow 0
		.amdhsa_exception_fp_ieee_underflow 0
		.amdhsa_exception_fp_ieee_inexact 0
		.amdhsa_exception_int_div_zero 0
	.end_amdhsa_kernel
	.section	.text._ZN2at6native12_GLOBAL__N_143conv_depthwise3d_cuda_backward_input_kernelIffLi3ELi3ELi3ELi1ELi1ELi1ELin1ELin1ELin1EEEvN5torch10headeronly6detail27GenericPackedTensorAccessorINS5_14TensorAccessorIN3c108ArrayRefIlEEKT_Lm4ENS4_16DefaultPtrTraitsEiEENS_6detail16IndexBoundsCheckILm5EiEESC_Lm5ESD_iEENS6_INS7_ISA_SB_Lm4ESD_iEESH_SB_Lm5ESD_iEESI_iiiiiiiii,"axG",@progbits,_ZN2at6native12_GLOBAL__N_143conv_depthwise3d_cuda_backward_input_kernelIffLi3ELi3ELi3ELi1ELi1ELi1ELin1ELin1ELin1EEEvN5torch10headeronly6detail27GenericPackedTensorAccessorINS5_14TensorAccessorIN3c108ArrayRefIlEEKT_Lm4ENS4_16DefaultPtrTraitsEiEENS_6detail16IndexBoundsCheckILm5EiEESC_Lm5ESD_iEENS6_INS7_ISA_SB_Lm4ESD_iEESH_SB_Lm5ESD_iEESI_iiiiiiiii,comdat
.Lfunc_end18:
	.size	_ZN2at6native12_GLOBAL__N_143conv_depthwise3d_cuda_backward_input_kernelIffLi3ELi3ELi3ELi1ELi1ELi1ELin1ELin1ELin1EEEvN5torch10headeronly6detail27GenericPackedTensorAccessorINS5_14TensorAccessorIN3c108ArrayRefIlEEKT_Lm4ENS4_16DefaultPtrTraitsEiEENS_6detail16IndexBoundsCheckILm5EiEESC_Lm5ESD_iEENS6_INS7_ISA_SB_Lm4ESD_iEESH_SB_Lm5ESD_iEESI_iiiiiiiii, .Lfunc_end18-_ZN2at6native12_GLOBAL__N_143conv_depthwise3d_cuda_backward_input_kernelIffLi3ELi3ELi3ELi1ELi1ELi1ELin1ELin1ELin1EEEvN5torch10headeronly6detail27GenericPackedTensorAccessorINS5_14TensorAccessorIN3c108ArrayRefIlEEKT_Lm4ENS4_16DefaultPtrTraitsEiEENS_6detail16IndexBoundsCheckILm5EiEESC_Lm5ESD_iEENS6_INS7_ISA_SB_Lm4ESD_iEESH_SB_Lm5ESD_iEESI_iiiiiiiii
                                        ; -- End function
	.set _ZN2at6native12_GLOBAL__N_143conv_depthwise3d_cuda_backward_input_kernelIffLi3ELi3ELi3ELi1ELi1ELi1ELin1ELin1ELin1EEEvN5torch10headeronly6detail27GenericPackedTensorAccessorINS5_14TensorAccessorIN3c108ArrayRefIlEEKT_Lm4ENS4_16DefaultPtrTraitsEiEENS_6detail16IndexBoundsCheckILm5EiEESC_Lm5ESD_iEENS6_INS7_ISA_SB_Lm4ESD_iEESH_SB_Lm5ESD_iEESI_iiiiiiiii.num_vgpr, 64
	.set _ZN2at6native12_GLOBAL__N_143conv_depthwise3d_cuda_backward_input_kernelIffLi3ELi3ELi3ELi1ELi1ELi1ELin1ELin1ELin1EEEvN5torch10headeronly6detail27GenericPackedTensorAccessorINS5_14TensorAccessorIN3c108ArrayRefIlEEKT_Lm4ENS4_16DefaultPtrTraitsEiEENS_6detail16IndexBoundsCheckILm5EiEESC_Lm5ESD_iEENS6_INS7_ISA_SB_Lm4ESD_iEESH_SB_Lm5ESD_iEESI_iiiiiiiii.num_agpr, 0
	.set _ZN2at6native12_GLOBAL__N_143conv_depthwise3d_cuda_backward_input_kernelIffLi3ELi3ELi3ELi1ELi1ELi1ELin1ELin1ELin1EEEvN5torch10headeronly6detail27GenericPackedTensorAccessorINS5_14TensorAccessorIN3c108ArrayRefIlEEKT_Lm4ENS4_16DefaultPtrTraitsEiEENS_6detail16IndexBoundsCheckILm5EiEESC_Lm5ESD_iEENS6_INS7_ISA_SB_Lm4ESD_iEESH_SB_Lm5ESD_iEESI_iiiiiiiii.numbered_sgpr, 100
	.set _ZN2at6native12_GLOBAL__N_143conv_depthwise3d_cuda_backward_input_kernelIffLi3ELi3ELi3ELi1ELi1ELi1ELin1ELin1ELin1EEEvN5torch10headeronly6detail27GenericPackedTensorAccessorINS5_14TensorAccessorIN3c108ArrayRefIlEEKT_Lm4ENS4_16DefaultPtrTraitsEiEENS_6detail16IndexBoundsCheckILm5EiEESC_Lm5ESD_iEENS6_INS7_ISA_SB_Lm4ESD_iEESH_SB_Lm5ESD_iEESI_iiiiiiiii.num_named_barrier, 0
	.set _ZN2at6native12_GLOBAL__N_143conv_depthwise3d_cuda_backward_input_kernelIffLi3ELi3ELi3ELi1ELi1ELi1ELin1ELin1ELin1EEEvN5torch10headeronly6detail27GenericPackedTensorAccessorINS5_14TensorAccessorIN3c108ArrayRefIlEEKT_Lm4ENS4_16DefaultPtrTraitsEiEENS_6detail16IndexBoundsCheckILm5EiEESC_Lm5ESD_iEENS6_INS7_ISA_SB_Lm4ESD_iEESH_SB_Lm5ESD_iEESI_iiiiiiiii.private_seg_size, 292
	.set _ZN2at6native12_GLOBAL__N_143conv_depthwise3d_cuda_backward_input_kernelIffLi3ELi3ELi3ELi1ELi1ELi1ELin1ELin1ELin1EEEvN5torch10headeronly6detail27GenericPackedTensorAccessorINS5_14TensorAccessorIN3c108ArrayRefIlEEKT_Lm4ENS4_16DefaultPtrTraitsEiEENS_6detail16IndexBoundsCheckILm5EiEESC_Lm5ESD_iEENS6_INS7_ISA_SB_Lm4ESD_iEESH_SB_Lm5ESD_iEESI_iiiiiiiii.uses_vcc, 1
	.set _ZN2at6native12_GLOBAL__N_143conv_depthwise3d_cuda_backward_input_kernelIffLi3ELi3ELi3ELi1ELi1ELi1ELin1ELin1ELin1EEEvN5torch10headeronly6detail27GenericPackedTensorAccessorINS5_14TensorAccessorIN3c108ArrayRefIlEEKT_Lm4ENS4_16DefaultPtrTraitsEiEENS_6detail16IndexBoundsCheckILm5EiEESC_Lm5ESD_iEENS6_INS7_ISA_SB_Lm4ESD_iEESH_SB_Lm5ESD_iEESI_iiiiiiiii.uses_flat_scratch, 0
	.set _ZN2at6native12_GLOBAL__N_143conv_depthwise3d_cuda_backward_input_kernelIffLi3ELi3ELi3ELi1ELi1ELi1ELin1ELin1ELin1EEEvN5torch10headeronly6detail27GenericPackedTensorAccessorINS5_14TensorAccessorIN3c108ArrayRefIlEEKT_Lm4ENS4_16DefaultPtrTraitsEiEENS_6detail16IndexBoundsCheckILm5EiEESC_Lm5ESD_iEENS6_INS7_ISA_SB_Lm4ESD_iEESH_SB_Lm5ESD_iEESI_iiiiiiiii.has_dyn_sized_stack, 0
	.set _ZN2at6native12_GLOBAL__N_143conv_depthwise3d_cuda_backward_input_kernelIffLi3ELi3ELi3ELi1ELi1ELi1ELin1ELin1ELin1EEEvN5torch10headeronly6detail27GenericPackedTensorAccessorINS5_14TensorAccessorIN3c108ArrayRefIlEEKT_Lm4ENS4_16DefaultPtrTraitsEiEENS_6detail16IndexBoundsCheckILm5EiEESC_Lm5ESD_iEENS6_INS7_ISA_SB_Lm4ESD_iEESH_SB_Lm5ESD_iEESI_iiiiiiiii.has_recursion, 0
	.set _ZN2at6native12_GLOBAL__N_143conv_depthwise3d_cuda_backward_input_kernelIffLi3ELi3ELi3ELi1ELi1ELi1ELin1ELin1ELin1EEEvN5torch10headeronly6detail27GenericPackedTensorAccessorINS5_14TensorAccessorIN3c108ArrayRefIlEEKT_Lm4ENS4_16DefaultPtrTraitsEiEENS_6detail16IndexBoundsCheckILm5EiEESC_Lm5ESD_iEENS6_INS7_ISA_SB_Lm4ESD_iEESH_SB_Lm5ESD_iEESI_iiiiiiiii.has_indirect_call, 0
	.section	.AMDGPU.csdata,"",@progbits
; Kernel info:
; codeLenInByte = 7988
; TotalNumSgprs: 104
; NumVgprs: 64
; ScratchSize: 292
; MemoryBound: 0
; FloatMode: 240
; IeeeMode: 1
; LDSByteSize: 0 bytes/workgroup (compile time only)
; SGPRBlocks: 12
; VGPRBlocks: 15
; NumSGPRsForWavesPerEU: 104
; NumVGPRsForWavesPerEU: 64
; Occupancy: 4
; WaveLimiterHint : 0
; COMPUTE_PGM_RSRC2:SCRATCH_EN: 1
; COMPUTE_PGM_RSRC2:USER_SGPR: 6
; COMPUTE_PGM_RSRC2:TRAP_HANDLER: 0
; COMPUTE_PGM_RSRC2:TGID_X_EN: 1
; COMPUTE_PGM_RSRC2:TGID_Y_EN: 0
; COMPUTE_PGM_RSRC2:TGID_Z_EN: 0
; COMPUTE_PGM_RSRC2:TIDIG_COMP_CNT: 0
	.section	.text._ZN2at6native12_GLOBAL__N_143conv_depthwise3d_cuda_backward_input_kernelIffLi3ELi3ELi3ELin1ELin1ELin1ELi1ELi1ELi1EEEvN5torch10headeronly6detail27GenericPackedTensorAccessorINS5_14TensorAccessorIN3c108ArrayRefIlEEKT_Lm4ENS4_16DefaultPtrTraitsEiEENS_6detail16IndexBoundsCheckILm5EiEESC_Lm5ESD_iEENS6_INS7_ISA_SB_Lm4ESD_iEESH_SB_Lm5ESD_iEESI_iiiiiiiii,"axG",@progbits,_ZN2at6native12_GLOBAL__N_143conv_depthwise3d_cuda_backward_input_kernelIffLi3ELi3ELi3ELin1ELin1ELin1ELi1ELi1ELi1EEEvN5torch10headeronly6detail27GenericPackedTensorAccessorINS5_14TensorAccessorIN3c108ArrayRefIlEEKT_Lm4ENS4_16DefaultPtrTraitsEiEENS_6detail16IndexBoundsCheckILm5EiEESC_Lm5ESD_iEENS6_INS7_ISA_SB_Lm4ESD_iEESH_SB_Lm5ESD_iEESI_iiiiiiiii,comdat
	.globl	_ZN2at6native12_GLOBAL__N_143conv_depthwise3d_cuda_backward_input_kernelIffLi3ELi3ELi3ELin1ELin1ELin1ELi1ELi1ELi1EEEvN5torch10headeronly6detail27GenericPackedTensorAccessorINS5_14TensorAccessorIN3c108ArrayRefIlEEKT_Lm4ENS4_16DefaultPtrTraitsEiEENS_6detail16IndexBoundsCheckILm5EiEESC_Lm5ESD_iEENS6_INS7_ISA_SB_Lm4ESD_iEESH_SB_Lm5ESD_iEESI_iiiiiiiii ; -- Begin function _ZN2at6native12_GLOBAL__N_143conv_depthwise3d_cuda_backward_input_kernelIffLi3ELi3ELi3ELin1ELin1ELin1ELi1ELi1ELi1EEEvN5torch10headeronly6detail27GenericPackedTensorAccessorINS5_14TensorAccessorIN3c108ArrayRefIlEEKT_Lm4ENS4_16DefaultPtrTraitsEiEENS_6detail16IndexBoundsCheckILm5EiEESC_Lm5ESD_iEENS6_INS7_ISA_SB_Lm4ESD_iEESH_SB_Lm5ESD_iEESI_iiiiiiiii
	.p2align	8
	.type	_ZN2at6native12_GLOBAL__N_143conv_depthwise3d_cuda_backward_input_kernelIffLi3ELi3ELi3ELin1ELin1ELin1ELi1ELi1ELi1EEEvN5torch10headeronly6detail27GenericPackedTensorAccessorINS5_14TensorAccessorIN3c108ArrayRefIlEEKT_Lm4ENS4_16DefaultPtrTraitsEiEENS_6detail16IndexBoundsCheckILm5EiEESC_Lm5ESD_iEENS6_INS7_ISA_SB_Lm4ESD_iEESH_SB_Lm5ESD_iEESI_iiiiiiiii,@function
_ZN2at6native12_GLOBAL__N_143conv_depthwise3d_cuda_backward_input_kernelIffLi3ELi3ELi3ELin1ELin1ELin1ELi1ELi1ELi1EEEvN5torch10headeronly6detail27GenericPackedTensorAccessorINS5_14TensorAccessorIN3c108ArrayRefIlEEKT_Lm4ENS4_16DefaultPtrTraitsEiEENS_6detail16IndexBoundsCheckILm5EiEESC_Lm5ESD_iEENS6_INS7_ISA_SB_Lm4ESD_iEESH_SB_Lm5ESD_iEESI_iiiiiiiii: ; @_ZN2at6native12_GLOBAL__N_143conv_depthwise3d_cuda_backward_input_kernelIffLi3ELi3ELi3ELin1ELin1ELin1ELi1ELi1ELi1EEEvN5torch10headeronly6detail27GenericPackedTensorAccessorINS5_14TensorAccessorIN3c108ArrayRefIlEEKT_Lm4ENS4_16DefaultPtrTraitsEiEENS_6detail16IndexBoundsCheckILm5EiEESC_Lm5ESD_iEENS6_INS7_ISA_SB_Lm4ESD_iEESH_SB_Lm5ESD_iEESI_iiiiiiiii
; %bb.0:
	s_load_dwordx4 s[28:31], s[4:5], 0x38
	s_load_dwordx2 s[34:35], s[4:5], 0x48
	s_mov_b64 s[98:99], s[2:3]
	s_mov_b64 s[96:97], s[0:1]
	s_add_u32 s96, s96, s7
	s_addc_u32 s97, s97, 0
	s_waitcnt lgkmcnt(0)
	s_abs_i32 s33, s29
	v_cvt_f32_u32_e32 v2, s33
	s_load_dword s2, s[4:5], 0xc4
	s_add_u32 s0, s4, 0xb8
	v_mov_b32_e32 v1, 0
	v_rcp_iflag_f32_e32 v2, v2
	v_mov_b32_e32 v3, s6
	s_addc_u32 s1, s5, 0
	s_waitcnt lgkmcnt(0)
	s_and_b32 s2, s2, 0xffff
	v_mul_f32_e32 v2, 0x4f7ffffe, v2
	v_mad_u64_u32 v[9:10], s[6:7], s2, v3, v[0:1]
	v_cvt_u32_f32_e32 v0, v2
	s_mul_i32 s6, s35, s28
	s_ashr_i32 s7, s6, 31
                                        ; implicit-def: $vgpr63 : SGPR spill to VGPR lane
	v_writelane_b32 v63, s6, 0
	v_cmp_gt_i64_e32 vcc, s[6:7], v[9:10]
	v_writelane_b32 v63, s7, 1
	v_readfirstlane_b32 s3, v0
	s_and_saveexec_b64 s[6:7], vcc
	s_cbranch_execz .LBB19_62
; %bb.1:
	s_load_dwordx4 s[36:39], s[4:5], 0xc
	s_load_dwordx2 s[8:9], s[4:5], 0x0
	s_sub_i32 s6, 0, s33
	s_ashr_i32 s10, s29, 31
	s_load_dwordx2 s[52:53], s[4:5], 0xac
	s_waitcnt lgkmcnt(0)
	s_ashr_i32 s7, s36, 31
	v_writelane_b32 v63, s8, 2
	v_writelane_b32 v63, s9, 3
	s_mul_i32 s9, s6, s3
	s_mul_hi_u32 s9, s3, s9
	s_abs_i32 s8, s36
	s_add_i32 s3, s3, s9
	s_mul_hi_u32 s3, s8, s3
	s_mul_i32 s9, s3, s33
	s_sub_i32 s8, s8, s9
	v_writelane_b32 v63, s10, 4
	s_xor_b32 s7, s7, s10
	s_add_i32 s9, s3, 1
	s_sub_i32 s10, s8, s33
	s_cmp_ge_u32 s8, s33
	s_cselect_b32 s3, s9, s3
	s_cselect_b32 s8, s10, s8
	s_add_i32 s9, s3, 1
	s_cmp_ge_u32 s8, s33
	s_cselect_b32 s3, s9, s3
	s_xor_b32 s3, s3, s7
	s_sub_i32 s36, s3, s7
	s_cmp_gt_i32 s36, 0
	s_load_dword s3, s[0:1], 0x0
	s_cselect_b64 s[0:1], -1, 0
	s_abs_i32 s28, s34
	v_cvt_f32_u32_e32 v1, s28
	s_load_dwordx4 s[40:43], s[4:5], 0x9c
	s_load_dword s7, s[4:5], 0x7c
	s_load_dwordx2 s[8:9], s[4:5], 0x60
	s_load_dwordx4 s[44:47], s[4:5], 0x50
	v_rcp_iflag_f32_e32 v1, v1
	s_waitcnt lgkmcnt(0)
	s_mul_i32 s2, s3, s2
	v_writelane_b32 v63, s7, 5
	v_writelane_b32 v63, s8, 6
	;; [unrolled: 1-line block ×3, first 2 shown]
	v_mul_f32_e32 v1, 0x4f7ffffe, v1
	v_writelane_b32 v63, s2, 8
	s_lshl_b32 s2, s53, 1
	v_cvt_u32_f32_e32 v1, v1
	v_writelane_b32 v63, s2, 9
	s_lshl_b32 s2, s52, 1
	v_writelane_b32 v63, s2, 10
	s_lshl_b32 s2, s43, 1
	v_writelane_b32 v63, s2, 11
	s_sub_i32 s2, 0, s28
	v_mul_lo_u32 v2, s2, v1
	s_abs_i32 s50, s31
	v_cvt_f32_u32_e32 v3, s50
	s_abs_i32 s51, s30
	v_cvt_f32_u32_e32 v4, s51
	v_mul_hi_u32 v2, v1, v2
	v_rcp_iflag_f32_e32 v3, v3
	s_load_dwordx2 s[54:55], s[4:5], 0x1c
	s_load_dwordx2 s[56:57], s[4:5], 0x30
	v_rcp_iflag_f32_e32 v4, v4
	v_add_u32_e32 v1, v1, v2
	buffer_store_dword v1, off, s[96:99], 0 offset:260 ; 4-byte Folded Spill
	v_mul_f32_e32 v1, 0x4f7ffffe, v3
	v_cvt_u32_f32_e32 v1, v1
	v_mul_f32_e32 v2, 0x4f7ffffe, v4
	v_cvt_u32_f32_e32 v2, v2
	v_mul_lo_u32 v5, s6, v0
	s_ashr_i32 s2, s34, 31
	v_writelane_b32 v63, s2, 12
	s_sub_i32 s2, 0, s50
	v_mul_lo_u32 v3, s2, v1
	s_sub_i32 s2, 0, s51
	v_mul_lo_u32 v4, s2, v2
	v_mul_hi_u32 v5, v0, v5
	v_mul_hi_u32 v3, v1, v3
	s_ashr_i32 s2, s31, 31
	v_mul_hi_u32 v4, v2, v4
	v_add_u32_e32 v0, v0, v5
	v_writelane_b32 v63, s2, 13
	s_ashr_i32 s2, s30, 31
	buffer_store_dword v0, off, s[96:99], 0 offset:272 ; 4-byte Folded Spill
	v_cndmask_b32_e64 v0, 0, 1, s[0:1]
	v_writelane_b32 v63, s2, 14
	v_cmp_ne_u32_e64 s[0:1], 1, v0
	v_add_u32_e32 v1, v1, v3
	v_writelane_b32 v63, s0, 15
	buffer_store_dword v1, off, s[96:99], 0 offset:264 ; 4-byte Folded Spill
	v_add_u32_e32 v1, v2, v4
	s_mov_b64 s[60:61], 0
	v_writelane_b32 v63, s1, 16
                                        ; kill: killed $sgpr4 killed $sgpr5
	buffer_store_dword v1, off, s[96:99], 0 offset:268 ; 4-byte Folded Spill
	s_branch .LBB19_4
.LBB19_2:                               ;   in Loop: Header=BB19_4 Depth=1
	s_or_b64 exec, exec, s[10:11]
	buffer_load_dword v9, off, s[96:99], 0 offset:232 ; 4-byte Folded Reload
	buffer_load_dword v10, off, s[96:99], 0 offset:236 ; 4-byte Folded Reload
	;; [unrolled: 1-line block ×7, first 2 shown]
.LBB19_3:                               ;   in Loop: Header=BB19_4 Depth=1
	s_waitcnt vmcnt(1)
	v_mul_lo_u32 v1, v23, s35
	s_waitcnt vmcnt(0)
	v_mul_lo_u32 v3, s44, v57
	s_waitcnt lgkmcnt(0)
	v_mov_b32_e32 v4, s57
	v_readlane_b32 s0, v63, 8
	v_ashrrev_i32_e32 v2, 31, v1
	v_lshlrev_b64 v[1:2], 2, v[1:2]
	v_add_co_u32_e32 v5, vcc, s56, v1
	v_addc_co_u32_e32 v6, vcc, v4, v2, vcc
	v_ashrrev_i32_e32 v4, 31, v3
	v_lshlrev_b64 v[1:2], 2, v[3:4]
	v_mul_lo_u32 v3, s45, v7
	v_add_co_u32_e32 v5, vcc, v5, v1
	v_addc_co_u32_e32 v6, vcc, v6, v2, vcc
	v_ashrrev_i32_e32 v4, 31, v3
	v_lshlrev_b64 v[1:2], 2, v[3:4]
	v_mul_lo_u32 v3, s46, v8
	;; [unrolled: 5-line block ×3, first 2 shown]
	v_add_co_u32_e32 v5, vcc, v5, v1
	v_addc_co_u32_e32 v6, vcc, v6, v2, vcc
	v_ashrrev_i32_e32 v4, 31, v3
	v_add_co_u32_e32 v9, vcc, s0, v9
	v_readlane_b32 s0, v63, 0
	v_lshlrev_b64 v[1:2], 2, v[3:4]
	v_addc_co_u32_e32 v10, vcc, 0, v10, vcc
	v_readlane_b32 s1, v63, 1
	v_cmp_le_i64_e32 vcc, s[0:1], v[9:10]
	v_add_co_u32_e64 v1, s[2:3], v5, v1
	v_addc_co_u32_e64 v2, s[2:3], v6, v2, s[2:3]
	s_or_b64 s[60:61], vcc, s[60:61]
	global_store_dword v[1:2], v0, off
	s_andn2_b64 exec, exec, s[60:61]
	s_cbranch_execz .LBB19_62
.LBB19_4:                               ; =>This Loop Header: Depth=1
                                        ;     Child Loop BB19_7 Depth 2
	buffer_load_dword v1, off, s[96:99], 0 offset:260 ; 4-byte Folded Reload
	v_sub_u32_e32 v0, 0, v9
	v_max_i32_e32 v0, v9, v0
	v_ashrrev_i32_e32 v3, 31, v9
	v_readlane_b32 s0, v63, 12
	v_xor_b32_e32 v3, s0, v3
	v_readlane_b32 s0, v63, 13
	s_waitcnt vmcnt(0)
	v_mul_hi_u32 v1, v0, v1
	v_mul_lo_u32 v2, v1, s28
	v_add_u32_e32 v4, 1, v1
	v_sub_u32_e32 v0, v0, v2
	v_cmp_le_u32_e32 vcc, s28, v0
	v_subrev_u32_e32 v2, s28, v0
	v_cndmask_b32_e32 v1, v1, v4, vcc
	v_cndmask_b32_e32 v0, v0, v2, vcc
	v_add_u32_e32 v2, 1, v1
	v_cmp_le_u32_e32 vcc, s28, v0
	v_cndmask_b32_e32 v0, v1, v2, vcc
	buffer_load_dword v2, off, s[96:99], 0 offset:264 ; 4-byte Folded Reload
	v_xor_b32_e32 v0, v0, v3
	v_sub_u32_e32 v0, v0, v3
	v_sub_u32_e32 v1, 0, v0
	v_max_i32_e32 v1, v0, v1
	v_ashrrev_i32_e32 v4, 31, v0
	v_xor_b32_e32 v4, s0, v4
	v_readlane_b32 s0, v63, 14
	s_waitcnt vmcnt(0)
	v_mul_hi_u32 v2, v1, v2
	v_mul_lo_u32 v3, v2, s50
	v_add_u32_e32 v5, 1, v2
	v_sub_u32_e32 v1, v1, v3
	v_cmp_le_u32_e32 vcc, s50, v1
	v_subrev_u32_e32 v3, s50, v1
	v_cndmask_b32_e32 v2, v2, v5, vcc
	v_cndmask_b32_e32 v1, v1, v3, vcc
	v_add_u32_e32 v3, 1, v2
	v_cmp_le_u32_e32 vcc, s50, v1
	v_cndmask_b32_e32 v1, v2, v3, vcc
	buffer_load_dword v3, off, s[96:99], 0 offset:268 ; 4-byte Folded Reload
	v_xor_b32_e32 v1, v1, v4
	v_sub_u32_e32 v1, v1, v4
	v_sub_u32_e32 v2, 0, v1
	v_max_i32_e32 v2, v1, v2
	v_ashrrev_i32_e32 v6, 31, v1
	v_xor_b32_e32 v6, s0, v6
	v_mul_lo_u32 v4, v0, s34
	v_readlane_b32 s0, v63, 4
	v_sub_u32_e32 v11, v9, v4
	v_mul_lo_u32 v4, v1, s31
	s_waitcnt vmcnt(0)
	v_mul_hi_u32 v3, v2, v3
	v_mul_lo_u32 v5, v3, s51
	v_add_u32_e32 v7, 1, v3
	v_sub_u32_e32 v2, v2, v5
	v_cmp_le_u32_e32 vcc, s51, v2
	v_subrev_u32_e32 v5, s51, v2
	v_cndmask_b32_e32 v3, v3, v7, vcc
	v_cndmask_b32_e32 v2, v2, v5, vcc
	v_add_u32_e32 v5, 1, v3
	v_cmp_le_u32_e32 vcc, s51, v2
	v_cndmask_b32_e32 v2, v3, v5, vcc
	buffer_load_dword v5, off, s[96:99], 0 offset:272 ; 4-byte Folded Reload
	v_xor_b32_e32 v2, v2, v6
	v_sub_u32_e32 v2, v2, v6
	v_sub_u32_e32 v3, 0, v2
	v_max_i32_e32 v3, v2, v3
	v_ashrrev_i32_e32 v8, 31, v2
	v_xor_b32_e32 v8, s0, v8
	v_mul_lo_u32 v7, v2, s30
	v_readlane_b32 s0, v63, 15
	v_readlane_b32 s1, v63, 16
	v_sub_u32_e32 v7, v1, v7
	s_waitcnt vmcnt(0)
	v_mul_hi_u32 v5, v3, v5
	v_mul_lo_u32 v6, v5, s33
	v_sub_u32_e32 v3, v3, v6
	v_add_u32_e32 v6, 1, v5
	v_cmp_le_u32_e32 vcc, s33, v3
	v_cndmask_b32_e32 v5, v5, v6, vcc
	v_subrev_u32_e32 v6, s33, v3
	v_cndmask_b32_e32 v3, v3, v6, vcc
	v_add_u32_e32 v6, 1, v5
	v_cmp_le_u32_e32 vcc, s33, v3
	v_cndmask_b32_e32 v3, v5, v6, vcc
	v_xor_b32_e32 v3, v3, v8
	v_sub_u32_e32 v23, v3, v8
	v_mul_lo_u32 v3, v23, s29
	v_sub_u32_e32 v8, v0, v4
	s_and_b64 vcc, exec, s[0:1]
	v_sub_u32_e32 v57, v2, v3
	s_cbranch_vccnz .LBB19_61
; %bb.5:                                ;   in Loop: Header=BB19_4 Depth=1
	v_add_u32_e32 v5, s41, v8
	v_add_u32_e32 v0, s42, v11
	;; [unrolled: 1-line block ×3, first 2 shown]
	v_or_b32_e32 v3, v0, v5
	v_readlane_b32 s0, v63, 10
	v_or_b32_e32 v1, v3, v2
	buffer_store_dword v9, off, s[96:99], 0 offset:232 ; 4-byte Folded Spill
	s_nop 0
	buffer_store_dword v10, off, s[96:99], 0 offset:236 ; 4-byte Folded Spill
	buffer_store_dword v7, off, s[96:99], 0 offset:248 ; 4-byte Folded Spill
	v_subrev_u32_e32 v7, s0, v5
	v_cmp_lt_i32_e32 vcc, -1, v1
	v_subrev_u32_e32 v1, s53, v0
	v_readlane_b32 s0, v63, 9
	v_or_b32_e32 v16, v1, v5
	v_subrev_u32_e32 v20, s0, v0
	v_subrev_u32_e32 v9, s52, v5
	v_or_b32_e32 v4, v16, v2
	v_or_b32_e32 v18, v20, v5
	v_cmp_gt_i32_e64 s[20:21], s38, v5
	v_cmp_gt_i32_e64 s[22:23], s39, v0
	;; [unrolled: 1-line block ×4, first 2 shown]
	buffer_store_dword v8, off, s[96:99], 0 offset:244 ; 4-byte Folded Spill
	v_or_b32_e32 v8, v0, v9
	v_cmp_lt_i32_e64 s[2:3], -1, v4
	v_or_b32_e32 v4, v18, v2
	s_and_b64 s[88:89], s[22:23], s[20:21]
	s_and_b64 s[86:87], s[24:25], s[20:21]
	s_and_b64 s[84:85], s[26:27], s[20:21]
	v_cmp_gt_i32_e64 s[20:21], s38, v9
	v_or_b32_e32 v14, v1, v9
	v_cmp_lt_i32_e64 s[4:5], -1, v4
	v_or_b32_e32 v4, v8, v2
	s_and_b64 s[82:83], s[22:23], s[20:21]
	s_and_b64 s[90:91], s[24:25], s[20:21]
	s_and_b64 s[48:49], s[26:27], s[20:21]
	v_cmp_gt_i32_e64 s[20:21], s38, v7
	;; [unrolled: 7-line block ×3, first 2 shown]
	s_and_b64 s[2:3], s[86:87], s[2:3]
	buffer_store_dword v11, off, s[96:99], 0 offset:240 ; 4-byte Folded Spill
	v_or_b32_e32 v11, v0, v7
	v_cmp_lt_i32_e64 s[8:9], -1, v4
	v_or_b32_e32 v4, v17, v2
	s_and_b64 s[24:25], s[2:3], s[20:21]
	s_and_b64 s[2:3], s[84:85], s[4:5]
	v_cmp_lt_i32_e64 s[10:11], -1, v4
	v_or_b32_e32 v4, v11, v2
	v_or_b32_e32 v13, v1, v7
	s_and_b64 s[26:27], s[2:3], s[20:21]
	s_and_b64 s[2:3], s[82:83], s[6:7]
	v_cmp_lt_i32_e64 s[12:13], -1, v4
	v_or_b32_e32 v4, v13, v2
	;; [unrolled: 5-line block ×3, first 2 shown]
	v_subrev_u32_e32 v19, s43, v2
	s_and_b64 s[64:65], s[2:3], s[20:21]
	s_and_b64 s[2:3], s[48:49], s[10:11]
	v_cmp_lt_i32_e64 s[16:17], -1, v4
	v_or_b32_e32 v4, v3, v19
	s_and_b64 s[66:67], s[2:3], s[20:21]
	s_and_b64 s[2:3], s[0:1], s[12:13]
	v_cmp_lt_i32_e64 s[18:19], -1, v4
	s_and_b64 s[12:13], s[2:3], s[20:21]
	s_and_b64 s[2:3], s[94:95], s[14:15]
	v_or_b32_e32 v4, v16, v19
	s_and_b64 s[22:23], s[88:89], vcc
	s_and_b64 s[14:15], s[2:3], s[20:21]
	s_and_b64 s[2:3], s[92:93], s[16:17]
	v_cmp_lt_i32_e32 vcc, -1, v4
	v_or_b32_e32 v4, v18, v19
	s_and_b64 s[16:17], s[2:3], s[20:21]
	v_or_b32_e32 v6, v8, v19
	v_cmp_lt_i32_e64 s[2:3], -1, v4
	v_cmp_gt_i32_e64 s[4:5], s37, v19
	s_and_b64 s[6:7], s[88:89], s[18:19]
	v_or_b32_e32 v10, v14, v19
	s_and_b64 s[18:19], s[6:7], s[4:5]
	s_and_b64 s[6:7], s[86:87], vcc
	s_and_b64 s[2:3], s[84:85], s[2:3]
	v_cmp_lt_i32_e32 vcc, -1, v6
	v_or_b32_e32 v4, v17, v19
	s_and_b64 s[68:69], s[2:3], s[4:5]
	s_and_b64 s[2:3], s[82:83], vcc
	v_cmp_lt_i32_e32 vcc, -1, v10
	v_or_b32_e32 v12, v11, v19
	s_and_b64 s[70:71], s[2:3], s[4:5]
	s_and_b64 s[2:3], s[90:91], vcc
	;; [unrolled: 4-line block ×4, first 2 shown]
	v_cmp_lt_i32_e32 vcc, -1, v21
	s_and_b64 s[76:77], s[2:3], s[4:5]
	s_and_b64 s[2:3], s[94:95], vcc
	v_cmp_lt_i32_e32 vcc, -1, v22
	v_mul_lo_u32 v60, v57, s36
	s_and_b64 s[78:79], s[2:3], s[4:5]
	s_and_b64 s[2:3], s[92:93], vcc
	s_and_b64 s[80:81], s[2:3], s[4:5]
	v_readlane_b32 s2, v63, 11
	v_mul_lo_u32 v26, v2, s38
	v_subrev_u32_e32 v21, s2, v2
	v_readlane_b32 s2, v63, 5
	v_mul_lo_u32 v2, s2, v60
	v_or_b32_e32 v3, v3, v21
	v_cmp_lt_i32_e32 vcc, -1, v3
	v_add_u32_e32 v3, v5, v26
	s_waitcnt lgkmcnt(0)
	v_mul_lo_u32 v22, s54, v23
	v_mul_lo_u32 v27, v3, s39
	v_add_u32_e32 v3, v9, v26
	v_mul_lo_u32 v28, v3, s39
	v_ashrrev_i32_e32 v3, 31, v2
	s_and_b64 s[22:23], s[22:23], s[20:21]
	s_and_b64 s[20:21], s[6:7], s[4:5]
	v_readlane_b32 s4, v63, 6
	v_lshlrev_b64 v[2:3], 2, v[2:3]
	v_readlane_b32 s5, v63, 7
	buffer_store_dword v23, off, s[96:99], 0 offset:252 ; 4-byte Folded Spill
	v_ashrrev_i32_e32 v23, 31, v22
	s_and_b64 s[10:11], s[88:89], vcc
	v_mov_b32_e32 v12, s5
	v_readlane_b32 s2, v63, 2
	v_add_co_u32_e32 v2, vcc, s4, v2
	v_lshlrev_b64 v[24:25], 2, v[22:23]
	v_mul_lo_u32 v19, v19, s38
	v_or_b32_e32 v42, v15, v21
	v_mul_lo_u32 v15, v21, s38
	v_readlane_b32 s3, v63, 3
	v_addc_co_u32_e32 v3, vcc, v12, v3, vcc
	v_mov_b32_e32 v29, s3
	v_add_u32_e32 v22, v7, v26
	v_add_co_u32_e32 v62, vcc, s2, v24
	v_mul_lo_u32 v23, v22, s39
	v_addc_co_u32_e32 v22, vcc, v29, v25, vcc
	v_add_u32_e32 v4, v0, v27
	buffer_store_dword v22, off, s[96:99], 0 offset:8 ; 4-byte Folded Spill
	v_or_b32_e32 v22, v16, v21
	v_add_u32_e32 v24, v5, v19
	v_add_u32_e32 v5, v5, v15
	v_cmp_lt_i32_e64 s[2:3], -1, v22
	v_or_b32_e32 v22, v18, v21
	v_or_b32_e32 v17, v17, v21
	v_mul_lo_u32 v46, v5, s39
	v_ashrrev_i32_e32 v5, 31, v4
	v_cmp_lt_i32_e64 s[6:7], -1, v22
	s_and_b64 s[86:87], s[86:87], s[2:3]
	v_cmp_lt_i32_e64 s[2:3], -1, v17
	v_add_u32_e32 v17, v7, v19
	v_lshlrev_b64 v[4:5], 2, v[4:5]
	v_add_u32_e32 v6, v1, v27
	v_mul_lo_u32 v25, v24, s39
	v_or_b32_e32 v24, v8, v21
	v_or_b32_e32 v14, v14, v21
	v_add_u32_e32 v26, v9, v19
	v_or_b32_e32 v11, v11, v21
	v_or_b32_e32 v13, v13, v21
	s_and_b64 s[88:89], s[84:85], s[6:7]
	v_cmp_gt_i32_e64 s[6:7], s37, v21
	v_add_u32_e32 v21, v9, v15
	v_mul_lo_u32 v9, v17, s39
	v_add_u32_e32 v52, v7, v15
	v_ashrrev_i32_e32 v7, 31, v6
	buffer_store_dword v4, off, s[96:99], 0 offset:16 ; 4-byte Folded Spill
	s_nop 0
	buffer_store_dword v5, off, s[96:99], 0 offset:20 ; 4-byte Folded Spill
	v_lshlrev_b64 v[4:5], 2, v[6:7]
	v_add_u32_e32 v8, v20, v27
	v_add_u32_e32 v34, v0, v9
	v_add_u32_e32 v38, v1, v9
	v_add_u32_e32 v40, v20, v9
	v_ashrrev_i32_e32 v9, 31, v8
	buffer_store_dword v4, off, s[96:99], 0 offset:24 ; 4-byte Folded Spill
	s_nop 0
	buffer_store_dword v5, off, s[96:99], 0 offset:28 ; 4-byte Folded Spill
	v_lshlrev_b64 v[4:5], 2, v[8:9]
	v_add_u32_e32 v10, v0, v28
	v_cmp_lt_i32_e64 s[4:5], -1, v24
	s_and_b64 s[58:59], s[82:83], s[4:5]
	v_cmp_lt_i32_e64 s[4:5], -1, v11
	v_ashrrev_i32_e32 v11, 31, v10
	buffer_store_dword v4, off, s[96:99], 0 offset:32 ; 4-byte Folded Spill
	s_nop 0
	buffer_store_dword v5, off, s[96:99], 0 offset:36 ; 4-byte Folded Spill
	v_lshlrev_b64 v[4:5], 2, v[10:11]
	v_add_u32_e32 v12, v1, v28
	v_cmp_lt_i32_e64 s[8:9], -1, v13
	v_ashrrev_i32_e32 v13, 31, v12
	buffer_store_dword v4, off, s[96:99], 0 offset:40 ; 4-byte Folded Spill
	s_nop 0
	buffer_store_dword v5, off, s[96:99], 0 offset:44 ; 4-byte Folded Spill
	v_lshlrev_b64 v[4:5], 2, v[12:13]
	v_cmp_lt_i32_e32 vcc, -1, v14
	v_add_u32_e32 v14, v20, v28
	v_ashrrev_i32_e32 v15, 31, v14
	buffer_store_dword v4, off, s[96:99], 0 offset:48 ; 4-byte Folded Spill
	s_nop 0
	buffer_store_dword v5, off, s[96:99], 0 offset:52 ; 4-byte Folded Spill
	v_lshlrev_b64 v[4:5], 2, v[14:15]
	v_add_u32_e32 v16, v0, v23
	v_ashrrev_i32_e32 v17, 31, v16
	buffer_store_dword v4, off, s[96:99], 0 offset:56 ; 4-byte Folded Spill
	s_nop 0
	buffer_store_dword v5, off, s[96:99], 0 offset:60 ; 4-byte Folded Spill
	v_lshlrev_b64 v[4:5], 2, v[16:17]
	;; [unrolled: 6-line block ×5, first 2 shown]
	v_add_u32_e32 v24, v1, v25
	v_add_u32_e32 v32, v20, v25
	v_ashrrev_i32_e32 v25, 31, v24
	buffer_store_dword v4, off, s[96:99], 0 offset:88 ; 4-byte Folded Spill
	s_nop 0
	buffer_store_dword v5, off, s[96:99], 0 offset:92 ; 4-byte Folded Spill
	v_mul_lo_u32 v27, v26, s39
	v_lshlrev_b64 v[4:5], 2, v[24:25]
	v_ashrrev_i32_e32 v33, 31, v32
	buffer_store_dword v4, off, s[96:99], 0 offset:96 ; 4-byte Folded Spill
	s_nop 0
	buffer_store_dword v5, off, s[96:99], 0 offset:100 ; 4-byte Folded Spill
	v_lshlrev_b64 v[4:5], 2, v[32:33]
	v_add_u32_e32 v28, v0, v27
	v_ashrrev_i32_e32 v29, 31, v28
	buffer_store_dword v4, off, s[96:99], 0 offset:104 ; 4-byte Folded Spill
	s_nop 0
	buffer_store_dword v5, off, s[96:99], 0 offset:108 ; 4-byte Folded Spill
	v_lshlrev_b64 v[4:5], 2, v[28:29]
	v_add_u32_e32 v26, v1, v27
	v_add_u32_e32 v36, v20, v27
	v_ashrrev_i32_e32 v27, 31, v26
	buffer_store_dword v4, off, s[96:99], 0 offset:112 ; 4-byte Folded Spill
	s_nop 0
	buffer_store_dword v5, off, s[96:99], 0 offset:116 ; 4-byte Folded Spill
	v_lshlrev_b64 v[4:5], 2, v[26:27]
	v_ashrrev_i32_e32 v37, 31, v36
	buffer_store_dword v4, off, s[96:99], 0 offset:120 ; 4-byte Folded Spill
	s_nop 0
	buffer_store_dword v5, off, s[96:99], 0 offset:124 ; 4-byte Folded Spill
	v_lshlrev_b64 v[4:5], 2, v[36:37]
	;; [unrolled: 5-line block ×5, first 2 shown]
	s_and_b64 s[82:83], s[10:11], s[6:7]
	v_cmp_lt_i32_e64 s[10:11], -1, v42
	v_add_u32_e32 v42, v0, v46
	v_ashrrev_i32_e32 v43, 31, v42
	buffer_store_dword v4, off, s[96:99], 0 offset:152 ; 4-byte Folded Spill
	s_nop 0
	buffer_store_dword v5, off, s[96:99], 0 offset:156 ; 4-byte Folded Spill
	v_lshlrev_b64 v[4:5], 2, v[42:43]
	v_add_u32_e32 v44, v1, v46
	v_ashrrev_i32_e32 v45, 31, v44
	buffer_store_dword v4, off, s[96:99], 0 offset:160 ; 4-byte Folded Spill
	s_nop 0
	buffer_store_dword v5, off, s[96:99], 0 offset:164 ; 4-byte Folded Spill
	v_mul_lo_u32 v21, v21, s39
	v_lshlrev_b64 v[4:5], 2, v[44:45]
	v_add_u32_e32 v46, v20, v46
	v_ashrrev_i32_e32 v47, 31, v46
	buffer_store_dword v4, off, s[96:99], 0 offset:168 ; 4-byte Folded Spill
	s_nop 0
	buffer_store_dword v5, off, s[96:99], 0 offset:172 ; 4-byte Folded Spill
	v_lshlrev_b64 v[4:5], 2, v[46:47]
	v_add_u32_e32 v48, v0, v21
	v_ashrrev_i32_e32 v49, 31, v48
	buffer_store_dword v4, off, s[96:99], 0 offset:176 ; 4-byte Folded Spill
	s_nop 0
	buffer_store_dword v5, off, s[96:99], 0 offset:180 ; 4-byte Folded Spill
	;; [unrolled: 6-line block ×3, first 2 shown]
	v_mul_lo_u32 v56, v52, s39
	v_lshlrev_b64 v[4:5], 2, v[50:51]
	v_add_u32_e32 v52, v20, v21
	v_ashrrev_i32_e32 v53, 31, v52
	buffer_store_dword v4, off, s[96:99], 0 offset:192 ; 4-byte Folded Spill
	s_nop 0
	buffer_store_dword v5, off, s[96:99], 0 offset:196 ; 4-byte Folded Spill
	v_lshlrev_b64 v[4:5], 2, v[52:53]
	v_add_u32_e32 v54, v0, v56
	v_add_u32_e32 v0, v1, v56
	v_ashrrev_i32_e32 v55, 31, v54
	v_ashrrev_i32_e32 v1, 31, v0
	buffer_store_dword v4, off, s[96:99], 0 offset:200 ; 4-byte Folded Spill
	s_nop 0
	buffer_store_dword v5, off, s[96:99], 0 offset:204 ; 4-byte Folded Spill
	s_and_b64 s[0:1], s[0:1], s[4:5]
	v_lshlrev_b64 v[4:5], 2, v[54:55]
	v_lshlrev_b64 v[0:1], 2, v[0:1]
	s_and_b64 s[4:5], s[0:1], s[6:7]
	s_and_b64 s[0:1], s[94:95], s[8:9]
	v_add_u32_e32 v20, v20, v56
	s_and_b64 s[84:85], s[86:87], s[6:7]
	s_and_b64 s[86:87], s[88:89], s[6:7]
	;; [unrolled: 1-line block ×3, first 2 shown]
	s_and_b64 s[58:59], s[90:91], vcc
	s_and_b64 s[2:3], s[48:49], s[2:3]
	s_and_b64 s[8:9], s[0:1], s[6:7]
	;; [unrolled: 1-line block ×3, first 2 shown]
	v_ashrrev_i32_e32 v21, 31, v20
	buffer_store_dword v4, off, s[96:99], 0 offset:208 ; 4-byte Folded Spill
	s_nop 0
	buffer_store_dword v5, off, s[96:99], 0 offset:212 ; 4-byte Folded Spill
	buffer_store_dword v0, off, s[96:99], 0 offset:216 ; 4-byte Folded Spill
	s_nop 0
	buffer_store_dword v1, off, s[96:99], 0 offset:220 ; 4-byte Folded Spill
	s_and_b64 s[90:91], s[58:59], s[6:7]
	s_and_b64 s[2:3], s[2:3], s[6:7]
	s_and_b64 s[6:7], s[0:1], s[6:7]
	v_lshlrev_b64 v[0:1], 2, v[20:21]
	s_mul_i32 s0, s55, s36
	v_mul_lo_u32 v58, s0, v57
	buffer_store_dword v0, off, s[96:99], 0 offset:224 ; 4-byte Folded Spill
	s_nop 0
	buffer_store_dword v1, off, s[96:99], 0 offset:228 ; 4-byte Folded Spill
	v_add_u32_e32 v0, s36, v60
	s_mov_b64 s[10:11], 0
	buffer_store_dword v0, off, s[96:99], 0 offset:12 ; 4-byte Folded Spill
	v_mov_b32_e32 v0, 0
	buffer_store_dword v57, off, s[96:99], 0 offset:256 ; 4-byte Folded Spill
	s_branch .LBB19_7
.LBB19_6:                               ;   in Loop: Header=BB19_7 Depth=2
	s_or_b64 exec, exec, s[0:1]
	buffer_load_dword v1, off, s[96:99], 0  ; 4-byte Folded Reload
	v_add_co_u32_e32 v2, vcc, 0x6c, v2
	v_addc_co_u32_e32 v3, vcc, 0, v3, vcc
	v_add_u32_e32 v60, 1, v60
	v_add_u32_e32 v58, s55, v58
	s_waitcnt vmcnt(0)
	v_fmac_f32_e32 v0, v1, v59
	buffer_load_dword v1, off, s[96:99], 0 offset:4 ; 4-byte Folded Reload
	s_waitcnt vmcnt(0)
	v_fmac_f32_e32 v0, v1, v7
	buffer_load_dword v1, off, s[96:99], 0 offset:12 ; 4-byte Folded Reload
	v_fmac_f32_e32 v0, v57, v6
	v_fmac_f32_e32 v0, v5, v11
	;; [unrolled: 1-line block ×25, first 2 shown]
	s_waitcnt vmcnt(0)
	v_cmp_ge_i32_e32 vcc, v60, v1
	s_or_b64 s[10:11], vcc, s[10:11]
	s_andn2_b64 exec, exec, s[10:11]
	s_cbranch_execz .LBB19_2
.LBB19_7:                               ;   Parent Loop BB19_4 Depth=1
                                        ; =>  This Inner Loop Header: Depth=2
	global_load_dword v1, v[2:3], off
	v_ashrrev_i32_e32 v59, 31, v58
	v_lshlrev_b64 v[4:5], 2, v[58:59]
	v_mov_b32_e32 v59, 0
	v_add_co_u32_e32 v61, vcc, v62, v4
	s_waitcnt vmcnt(0)
	buffer_store_dword v1, off, s[96:99], 0 ; 4-byte Folded Spill
	buffer_load_dword v1, off, s[96:99], 0 offset:8 ; 4-byte Folded Reload
	s_waitcnt vmcnt(0)
	v_addc_co_u32_e32 v4, vcc, v1, v5, vcc
	s_and_saveexec_b64 s[0:1], s[22:23]
	s_cbranch_execz .LBB19_9
; %bb.8:                                ;   in Loop: Header=BB19_7 Depth=2
	buffer_load_dword v5, off, s[96:99], 0 offset:16 ; 4-byte Folded Reload
	buffer_load_dword v6, off, s[96:99], 0 offset:20 ; 4-byte Folded Reload
	s_waitcnt vmcnt(1)
	v_add_co_u32_e32 v5, vcc, v61, v5
	s_waitcnt vmcnt(0)
	v_addc_co_u32_e32 v6, vcc, v4, v6, vcc
	global_load_dword v59, v[5:6], off
.LBB19_9:                               ;   in Loop: Header=BB19_7 Depth=2
	s_or_b64 exec, exec, s[0:1]
	global_load_dword v1, v[2:3], off offset:4
	v_mov_b32_e32 v6, 0
	v_mov_b32_e32 v7, 0
	s_waitcnt vmcnt(0)
	buffer_store_dword v1, off, s[96:99], 0 offset:4 ; 4-byte Folded Spill
	s_and_saveexec_b64 s[0:1], s[24:25]
	s_cbranch_execz .LBB19_11
; %bb.10:                               ;   in Loop: Header=BB19_7 Depth=2
	buffer_load_dword v7, off, s[96:99], 0 offset:24 ; 4-byte Folded Reload
	buffer_load_dword v8, off, s[96:99], 0 offset:28 ; 4-byte Folded Reload
	s_waitcnt vmcnt(1)
	v_add_co_u32_e32 v7, vcc, v61, v7
	s_waitcnt vmcnt(0)
	v_addc_co_u32_e32 v8, vcc, v4, v8, vcc
	global_load_dword v7, v[7:8], off
.LBB19_11:                              ;   in Loop: Header=BB19_7 Depth=2
	s_or_b64 exec, exec, s[0:1]
	global_load_dword v57, v[2:3], off offset:8
	s_and_saveexec_b64 s[0:1], s[26:27]
	s_cbranch_execz .LBB19_13
; %bb.12:                               ;   in Loop: Header=BB19_7 Depth=2
	buffer_load_dword v9, off, s[96:99], 0 offset:32 ; 4-byte Folded Reload
	buffer_load_dword v10, off, s[96:99], 0 offset:36 ; 4-byte Folded Reload
	s_waitcnt vmcnt(1)
	v_add_co_u32_e32 v9, vcc, v61, v9
	s_waitcnt vmcnt(0)
	v_addc_co_u32_e32 v10, vcc, v4, v10, vcc
	global_load_dword v6, v[9:10], off
.LBB19_13:                              ;   in Loop: Header=BB19_7 Depth=2
	s_or_b64 exec, exec, s[0:1]
	global_load_dword v5, v[2:3], off offset:12
	v_mov_b32_e32 v10, 0
	v_mov_b32_e32 v11, 0
	s_and_saveexec_b64 s[0:1], s[62:63]
	s_cbranch_execz .LBB19_15
; %bb.14:                               ;   in Loop: Header=BB19_7 Depth=2
	buffer_load_dword v11, off, s[96:99], 0 offset:40 ; 4-byte Folded Reload
	buffer_load_dword v12, off, s[96:99], 0 offset:44 ; 4-byte Folded Reload
	s_waitcnt vmcnt(1)
	v_add_co_u32_e32 v11, vcc, v61, v11
	s_waitcnt vmcnt(0)
	v_addc_co_u32_e32 v12, vcc, v4, v12, vcc
	global_load_dword v11, v[11:12], off
.LBB19_15:                              ;   in Loop: Header=BB19_7 Depth=2
	s_or_b64 exec, exec, s[0:1]
	global_load_dword v12, v[2:3], off offset:16
	s_and_saveexec_b64 s[0:1], s[64:65]
	s_cbranch_execz .LBB19_17
; %bb.16:                               ;   in Loop: Header=BB19_7 Depth=2
	buffer_load_dword v13, off, s[96:99], 0 offset:48 ; 4-byte Folded Reload
	buffer_load_dword v14, off, s[96:99], 0 offset:52 ; 4-byte Folded Reload
	s_waitcnt vmcnt(1)
	v_add_co_u32_e32 v13, vcc, v61, v13
	s_waitcnt vmcnt(0)
	v_addc_co_u32_e32 v14, vcc, v4, v14, vcc
	global_load_dword v10, v[13:14], off
.LBB19_17:                              ;   in Loop: Header=BB19_7 Depth=2
	s_or_b64 exec, exec, s[0:1]
	global_load_dword v13, v[2:3], off offset:20
	v_mov_b32_e32 v14, 0
	v_mov_b32_e32 v15, 0
	;; [unrolled: 28-line block ×12, first 2 shown]
	s_and_saveexec_b64 s[0:1], s[8:9]
	s_cbranch_execz .LBB19_59
; %bb.58:                               ;   in Loop: Header=BB19_7 Depth=2
	buffer_load_dword v55, off, s[96:99], 0 offset:216 ; 4-byte Folded Reload
	buffer_load_dword v56, off, s[96:99], 0 offset:220 ; 4-byte Folded Reload
	s_waitcnt vmcnt(1)
	v_add_co_u32_e32 v55, vcc, v61, v55
	s_waitcnt vmcnt(0)
	v_addc_co_u32_e32 v56, vcc, v4, v56, vcc
	global_load_dword v55, v[55:56], off
.LBB19_59:                              ;   in Loop: Header=BB19_7 Depth=2
	s_or_b64 exec, exec, s[0:1]
	global_load_dword v56, v[2:3], off offset:104
	s_and_saveexec_b64 s[0:1], s[6:7]
	s_cbranch_execz .LBB19_6
; %bb.60:                               ;   in Loop: Header=BB19_7 Depth=2
	buffer_load_dword v8, off, s[96:99], 0 offset:224 ; 4-byte Folded Reload
	buffer_load_dword v9, off, s[96:99], 0 offset:228 ; 4-byte Folded Reload
	v_mov_b32_e32 v1, v62
	s_waitcnt vmcnt(1)
	v_add_co_u32_e32 v61, vcc, v61, v8
	s_waitcnt vmcnt(0)
	v_addc_co_u32_e32 v62, vcc, v4, v9, vcc
	global_load_dword v54, v[61:62], off
	v_mov_b32_e32 v62, v1
	s_branch .LBB19_6
.LBB19_61:                              ;   in Loop: Header=BB19_4 Depth=1
	v_mov_b32_e32 v0, 0
	s_branch .LBB19_3
.LBB19_62:
	s_endpgm
	.section	.rodata,"a",@progbits
	.p2align	6, 0x0
	.amdhsa_kernel _ZN2at6native12_GLOBAL__N_143conv_depthwise3d_cuda_backward_input_kernelIffLi3ELi3ELi3ELin1ELin1ELin1ELi1ELi1ELi1EEEvN5torch10headeronly6detail27GenericPackedTensorAccessorINS5_14TensorAccessorIN3c108ArrayRefIlEEKT_Lm4ENS4_16DefaultPtrTraitsEiEENS_6detail16IndexBoundsCheckILm5EiEESC_Lm5ESD_iEENS6_INS7_ISA_SB_Lm4ESD_iEESH_SB_Lm5ESD_iEESI_iiiiiiiii
		.amdhsa_group_segment_fixed_size 0
		.amdhsa_private_segment_fixed_size 280
		.amdhsa_kernarg_size 440
		.amdhsa_user_sgpr_count 6
		.amdhsa_user_sgpr_private_segment_buffer 1
		.amdhsa_user_sgpr_dispatch_ptr 0
		.amdhsa_user_sgpr_queue_ptr 0
		.amdhsa_user_sgpr_kernarg_segment_ptr 1
		.amdhsa_user_sgpr_dispatch_id 0
		.amdhsa_user_sgpr_flat_scratch_init 0
		.amdhsa_user_sgpr_private_segment_size 0
		.amdhsa_uses_dynamic_stack 0
		.amdhsa_system_sgpr_private_segment_wavefront_offset 1
		.amdhsa_system_sgpr_workgroup_id_x 1
		.amdhsa_system_sgpr_workgroup_id_y 0
		.amdhsa_system_sgpr_workgroup_id_z 0
		.amdhsa_system_sgpr_workgroup_info 0
		.amdhsa_system_vgpr_workitem_id 0
		.amdhsa_next_free_vgpr 64
		.amdhsa_next_free_sgpr 100
		.amdhsa_reserve_vcc 1
		.amdhsa_reserve_flat_scratch 0
		.amdhsa_float_round_mode_32 0
		.amdhsa_float_round_mode_16_64 0
		.amdhsa_float_denorm_mode_32 3
		.amdhsa_float_denorm_mode_16_64 3
		.amdhsa_dx10_clamp 1
		.amdhsa_ieee_mode 1
		.amdhsa_fp16_overflow 0
		.amdhsa_exception_fp_ieee_invalid_op 0
		.amdhsa_exception_fp_denorm_src 0
		.amdhsa_exception_fp_ieee_div_zero 0
		.amdhsa_exception_fp_ieee_overflow 0
		.amdhsa_exception_fp_ieee_underflow 0
		.amdhsa_exception_fp_ieee_inexact 0
		.amdhsa_exception_int_div_zero 0
	.end_amdhsa_kernel
	.section	.text._ZN2at6native12_GLOBAL__N_143conv_depthwise3d_cuda_backward_input_kernelIffLi3ELi3ELi3ELin1ELin1ELin1ELi1ELi1ELi1EEEvN5torch10headeronly6detail27GenericPackedTensorAccessorINS5_14TensorAccessorIN3c108ArrayRefIlEEKT_Lm4ENS4_16DefaultPtrTraitsEiEENS_6detail16IndexBoundsCheckILm5EiEESC_Lm5ESD_iEENS6_INS7_ISA_SB_Lm4ESD_iEESH_SB_Lm5ESD_iEESI_iiiiiiiii,"axG",@progbits,_ZN2at6native12_GLOBAL__N_143conv_depthwise3d_cuda_backward_input_kernelIffLi3ELi3ELi3ELin1ELin1ELin1ELi1ELi1ELi1EEEvN5torch10headeronly6detail27GenericPackedTensorAccessorINS5_14TensorAccessorIN3c108ArrayRefIlEEKT_Lm4ENS4_16DefaultPtrTraitsEiEENS_6detail16IndexBoundsCheckILm5EiEESC_Lm5ESD_iEENS6_INS7_ISA_SB_Lm4ESD_iEESH_SB_Lm5ESD_iEESI_iiiiiiiii,comdat
.Lfunc_end19:
	.size	_ZN2at6native12_GLOBAL__N_143conv_depthwise3d_cuda_backward_input_kernelIffLi3ELi3ELi3ELin1ELin1ELin1ELi1ELi1ELi1EEEvN5torch10headeronly6detail27GenericPackedTensorAccessorINS5_14TensorAccessorIN3c108ArrayRefIlEEKT_Lm4ENS4_16DefaultPtrTraitsEiEENS_6detail16IndexBoundsCheckILm5EiEESC_Lm5ESD_iEENS6_INS7_ISA_SB_Lm4ESD_iEESH_SB_Lm5ESD_iEESI_iiiiiiiii, .Lfunc_end19-_ZN2at6native12_GLOBAL__N_143conv_depthwise3d_cuda_backward_input_kernelIffLi3ELi3ELi3ELin1ELin1ELin1ELi1ELi1ELi1EEEvN5torch10headeronly6detail27GenericPackedTensorAccessorINS5_14TensorAccessorIN3c108ArrayRefIlEEKT_Lm4ENS4_16DefaultPtrTraitsEiEENS_6detail16IndexBoundsCheckILm5EiEESC_Lm5ESD_iEENS6_INS7_ISA_SB_Lm4ESD_iEESH_SB_Lm5ESD_iEESI_iiiiiiiii
                                        ; -- End function
	.set _ZN2at6native12_GLOBAL__N_143conv_depthwise3d_cuda_backward_input_kernelIffLi3ELi3ELi3ELin1ELin1ELin1ELi1ELi1ELi1EEEvN5torch10headeronly6detail27GenericPackedTensorAccessorINS5_14TensorAccessorIN3c108ArrayRefIlEEKT_Lm4ENS4_16DefaultPtrTraitsEiEENS_6detail16IndexBoundsCheckILm5EiEESC_Lm5ESD_iEENS6_INS7_ISA_SB_Lm4ESD_iEESH_SB_Lm5ESD_iEESI_iiiiiiiii.num_vgpr, 64
	.set _ZN2at6native12_GLOBAL__N_143conv_depthwise3d_cuda_backward_input_kernelIffLi3ELi3ELi3ELin1ELin1ELin1ELi1ELi1ELi1EEEvN5torch10headeronly6detail27GenericPackedTensorAccessorINS5_14TensorAccessorIN3c108ArrayRefIlEEKT_Lm4ENS4_16DefaultPtrTraitsEiEENS_6detail16IndexBoundsCheckILm5EiEESC_Lm5ESD_iEENS6_INS7_ISA_SB_Lm4ESD_iEESH_SB_Lm5ESD_iEESI_iiiiiiiii.num_agpr, 0
	.set _ZN2at6native12_GLOBAL__N_143conv_depthwise3d_cuda_backward_input_kernelIffLi3ELi3ELi3ELin1ELin1ELin1ELi1ELi1ELi1EEEvN5torch10headeronly6detail27GenericPackedTensorAccessorINS5_14TensorAccessorIN3c108ArrayRefIlEEKT_Lm4ENS4_16DefaultPtrTraitsEiEENS_6detail16IndexBoundsCheckILm5EiEESC_Lm5ESD_iEENS6_INS7_ISA_SB_Lm4ESD_iEESH_SB_Lm5ESD_iEESI_iiiiiiiii.numbered_sgpr, 100
	.set _ZN2at6native12_GLOBAL__N_143conv_depthwise3d_cuda_backward_input_kernelIffLi3ELi3ELi3ELin1ELin1ELin1ELi1ELi1ELi1EEEvN5torch10headeronly6detail27GenericPackedTensorAccessorINS5_14TensorAccessorIN3c108ArrayRefIlEEKT_Lm4ENS4_16DefaultPtrTraitsEiEENS_6detail16IndexBoundsCheckILm5EiEESC_Lm5ESD_iEENS6_INS7_ISA_SB_Lm4ESD_iEESH_SB_Lm5ESD_iEESI_iiiiiiiii.num_named_barrier, 0
	.set _ZN2at6native12_GLOBAL__N_143conv_depthwise3d_cuda_backward_input_kernelIffLi3ELi3ELi3ELin1ELin1ELin1ELi1ELi1ELi1EEEvN5torch10headeronly6detail27GenericPackedTensorAccessorINS5_14TensorAccessorIN3c108ArrayRefIlEEKT_Lm4ENS4_16DefaultPtrTraitsEiEENS_6detail16IndexBoundsCheckILm5EiEESC_Lm5ESD_iEENS6_INS7_ISA_SB_Lm4ESD_iEESH_SB_Lm5ESD_iEESI_iiiiiiiii.private_seg_size, 280
	.set _ZN2at6native12_GLOBAL__N_143conv_depthwise3d_cuda_backward_input_kernelIffLi3ELi3ELi3ELin1ELin1ELin1ELi1ELi1ELi1EEEvN5torch10headeronly6detail27GenericPackedTensorAccessorINS5_14TensorAccessorIN3c108ArrayRefIlEEKT_Lm4ENS4_16DefaultPtrTraitsEiEENS_6detail16IndexBoundsCheckILm5EiEESC_Lm5ESD_iEENS6_INS7_ISA_SB_Lm4ESD_iEESH_SB_Lm5ESD_iEESI_iiiiiiiii.uses_vcc, 1
	.set _ZN2at6native12_GLOBAL__N_143conv_depthwise3d_cuda_backward_input_kernelIffLi3ELi3ELi3ELin1ELin1ELin1ELi1ELi1ELi1EEEvN5torch10headeronly6detail27GenericPackedTensorAccessorINS5_14TensorAccessorIN3c108ArrayRefIlEEKT_Lm4ENS4_16DefaultPtrTraitsEiEENS_6detail16IndexBoundsCheckILm5EiEESC_Lm5ESD_iEENS6_INS7_ISA_SB_Lm4ESD_iEESH_SB_Lm5ESD_iEESI_iiiiiiiii.uses_flat_scratch, 0
	.set _ZN2at6native12_GLOBAL__N_143conv_depthwise3d_cuda_backward_input_kernelIffLi3ELi3ELi3ELin1ELin1ELin1ELi1ELi1ELi1EEEvN5torch10headeronly6detail27GenericPackedTensorAccessorINS5_14TensorAccessorIN3c108ArrayRefIlEEKT_Lm4ENS4_16DefaultPtrTraitsEiEENS_6detail16IndexBoundsCheckILm5EiEESC_Lm5ESD_iEENS6_INS7_ISA_SB_Lm4ESD_iEESH_SB_Lm5ESD_iEESI_iiiiiiiii.has_dyn_sized_stack, 0
	.set _ZN2at6native12_GLOBAL__N_143conv_depthwise3d_cuda_backward_input_kernelIffLi3ELi3ELi3ELin1ELin1ELin1ELi1ELi1ELi1EEEvN5torch10headeronly6detail27GenericPackedTensorAccessorINS5_14TensorAccessorIN3c108ArrayRefIlEEKT_Lm4ENS4_16DefaultPtrTraitsEiEENS_6detail16IndexBoundsCheckILm5EiEESC_Lm5ESD_iEENS6_INS7_ISA_SB_Lm4ESD_iEESH_SB_Lm5ESD_iEESI_iiiiiiiii.has_recursion, 0
	.set _ZN2at6native12_GLOBAL__N_143conv_depthwise3d_cuda_backward_input_kernelIffLi3ELi3ELi3ELin1ELin1ELin1ELi1ELi1ELi1EEEvN5torch10headeronly6detail27GenericPackedTensorAccessorINS5_14TensorAccessorIN3c108ArrayRefIlEEKT_Lm4ENS4_16DefaultPtrTraitsEiEENS_6detail16IndexBoundsCheckILm5EiEESC_Lm5ESD_iEENS6_INS7_ISA_SB_Lm4ESD_iEESH_SB_Lm5ESD_iEESI_iiiiiiiii.has_indirect_call, 0
	.section	.AMDGPU.csdata,"",@progbits
; Kernel info:
; codeLenInByte = 5448
; TotalNumSgprs: 104
; NumVgprs: 64
; ScratchSize: 280
; MemoryBound: 0
; FloatMode: 240
; IeeeMode: 1
; LDSByteSize: 0 bytes/workgroup (compile time only)
; SGPRBlocks: 12
; VGPRBlocks: 15
; NumSGPRsForWavesPerEU: 104
; NumVGPRsForWavesPerEU: 64
; Occupancy: 4
; WaveLimiterHint : 0
; COMPUTE_PGM_RSRC2:SCRATCH_EN: 1
; COMPUTE_PGM_RSRC2:USER_SGPR: 6
; COMPUTE_PGM_RSRC2:TRAP_HANDLER: 0
; COMPUTE_PGM_RSRC2:TGID_X_EN: 1
; COMPUTE_PGM_RSRC2:TGID_Y_EN: 0
; COMPUTE_PGM_RSRC2:TGID_Z_EN: 0
; COMPUTE_PGM_RSRC2:TIDIG_COMP_CNT: 0
	.section	.text._ZN2at6native12_GLOBAL__N_143conv_depthwise3d_cuda_backward_input_kernelIffLi3ELi3ELi3ELin1ELin1ELin1ELin1ELin1ELin1EEEvN5torch10headeronly6detail27GenericPackedTensorAccessorINS5_14TensorAccessorIN3c108ArrayRefIlEEKT_Lm4ENS4_16DefaultPtrTraitsEiEENS_6detail16IndexBoundsCheckILm5EiEESC_Lm5ESD_iEENS6_INS7_ISA_SB_Lm4ESD_iEESH_SB_Lm5ESD_iEESI_iiiiiiiii,"axG",@progbits,_ZN2at6native12_GLOBAL__N_143conv_depthwise3d_cuda_backward_input_kernelIffLi3ELi3ELi3ELin1ELin1ELin1ELin1ELin1ELin1EEEvN5torch10headeronly6detail27GenericPackedTensorAccessorINS5_14TensorAccessorIN3c108ArrayRefIlEEKT_Lm4ENS4_16DefaultPtrTraitsEiEENS_6detail16IndexBoundsCheckILm5EiEESC_Lm5ESD_iEENS6_INS7_ISA_SB_Lm4ESD_iEESH_SB_Lm5ESD_iEESI_iiiiiiiii,comdat
	.globl	_ZN2at6native12_GLOBAL__N_143conv_depthwise3d_cuda_backward_input_kernelIffLi3ELi3ELi3ELin1ELin1ELin1ELin1ELin1ELin1EEEvN5torch10headeronly6detail27GenericPackedTensorAccessorINS5_14TensorAccessorIN3c108ArrayRefIlEEKT_Lm4ENS4_16DefaultPtrTraitsEiEENS_6detail16IndexBoundsCheckILm5EiEESC_Lm5ESD_iEENS6_INS7_ISA_SB_Lm4ESD_iEESH_SB_Lm5ESD_iEESI_iiiiiiiii ; -- Begin function _ZN2at6native12_GLOBAL__N_143conv_depthwise3d_cuda_backward_input_kernelIffLi3ELi3ELi3ELin1ELin1ELin1ELin1ELin1ELin1EEEvN5torch10headeronly6detail27GenericPackedTensorAccessorINS5_14TensorAccessorIN3c108ArrayRefIlEEKT_Lm4ENS4_16DefaultPtrTraitsEiEENS_6detail16IndexBoundsCheckILm5EiEESC_Lm5ESD_iEENS6_INS7_ISA_SB_Lm4ESD_iEESH_SB_Lm5ESD_iEESI_iiiiiiiii
	.p2align	8
	.type	_ZN2at6native12_GLOBAL__N_143conv_depthwise3d_cuda_backward_input_kernelIffLi3ELi3ELi3ELin1ELin1ELin1ELin1ELin1ELin1EEEvN5torch10headeronly6detail27GenericPackedTensorAccessorINS5_14TensorAccessorIN3c108ArrayRefIlEEKT_Lm4ENS4_16DefaultPtrTraitsEiEENS_6detail16IndexBoundsCheckILm5EiEESC_Lm5ESD_iEENS6_INS7_ISA_SB_Lm4ESD_iEESH_SB_Lm5ESD_iEESI_iiiiiiiii,@function
_ZN2at6native12_GLOBAL__N_143conv_depthwise3d_cuda_backward_input_kernelIffLi3ELi3ELi3ELin1ELin1ELin1ELin1ELin1ELin1EEEvN5torch10headeronly6detail27GenericPackedTensorAccessorINS5_14TensorAccessorIN3c108ArrayRefIlEEKT_Lm4ENS4_16DefaultPtrTraitsEiEENS_6detail16IndexBoundsCheckILm5EiEESC_Lm5ESD_iEENS6_INS7_ISA_SB_Lm4ESD_iEESH_SB_Lm5ESD_iEESI_iiiiiiiii: ; @_ZN2at6native12_GLOBAL__N_143conv_depthwise3d_cuda_backward_input_kernelIffLi3ELi3ELi3ELin1ELin1ELin1ELin1ELin1ELin1EEEvN5torch10headeronly6detail27GenericPackedTensorAccessorINS5_14TensorAccessorIN3c108ArrayRefIlEEKT_Lm4ENS4_16DefaultPtrTraitsEiEENS_6detail16IndexBoundsCheckILm5EiEESC_Lm5ESD_iEENS6_INS7_ISA_SB_Lm4ESD_iEESH_SB_Lm5ESD_iEESI_iiiiiiiii
; %bb.0:
	s_load_dwordx4 s[8:11], s[4:5], 0x38
	s_load_dwordx2 s[16:17], s[4:5], 0x48
	s_mov_b64 s[98:99], s[2:3]
	s_mov_b64 s[96:97], s[0:1]
	s_add_u32 s96, s96, s7
	s_addc_u32 s97, s97, 0
	s_waitcnt lgkmcnt(0)
	s_abs_i32 s0, s9
	v_cvt_f32_u32_e32 v2, s0
	s_load_dword s2, s[4:5], 0xc4
                                        ; implicit-def: $vgpr62 : SGPR spill to VGPR lane
	v_mov_b32_e32 v1, 0
	v_writelane_b32 v62, s0, 0
	v_rcp_iflag_f32_e32 v2, v2
	s_add_u32 s0, s4, 0xb8
	v_mov_b32_e32 v3, s6
	s_addc_u32 s1, s5, 0
	s_waitcnt lgkmcnt(0)
	s_and_b32 s2, s2, 0xffff
	v_mul_f32_e32 v2, 0x4f7ffffe, v2
	v_mad_u64_u32 v[4:5], s[6:7], s2, v3, v[0:1]
	v_writelane_b32 v62, s8, 1
	v_cvt_u32_f32_e32 v0, v2
	v_writelane_b32 v62, s9, 2
	v_writelane_b32 v62, s10, 3
	s_mul_i32 s6, s17, s8
	v_writelane_b32 v62, s11, 4
	s_ashr_i32 s7, s6, 31
	v_writelane_b32 v62, s6, 5
	v_cmp_gt_i64_e32 vcc, s[6:7], v[4:5]
	v_writelane_b32 v62, s7, 6
	v_readfirstlane_b32 s3, v0
	s_and_saveexec_b64 s[6:7], vcc
	s_cbranch_execz .LBB20_63
; %bb.1:
	s_load_dwordx2 s[8:9], s[4:5], 0x0
	s_load_dwordx4 s[20:23], s[4:5], 0xc
	s_load_dwordx4 s[12:15], s[4:5], 0x38
	v_readlane_b32 s11, v62, 0
	s_sub_i32 s6, 0, s11
                                        ; kill: killed $sgpr0 killed $sgpr1
                                        ; kill: killed $sgpr4 killed $sgpr5
	v_mov_b32_e32 v7, v5
	s_waitcnt lgkmcnt(0)
	v_writelane_b32 v62, s8, 7
	v_writelane_b32 v62, s9, 8
	s_mul_i32 s9, s6, s3
	s_mul_hi_u32 s9, s3, s9
	s_ashr_i32 s7, s20, 31
	v_writelane_b32 v62, s20, 9
	s_abs_i32 s8, s20
	s_add_i32 s3, s3, s9
	v_writelane_b32 v62, s21, 10
	s_mul_hi_u32 s3, s8, s3
	v_writelane_b32 v62, s22, 11
	s_mul_i32 s9, s3, s11
	s_ashr_i32 s10, s13, 31
	v_writelane_b32 v62, s23, 12
	s_sub_i32 s8, s8, s9
	v_writelane_b32 v62, s10, 13
	s_xor_b32 s7, s7, s10
	s_add_i32 s9, s3, 1
	s_sub_i32 s10, s8, s11
	s_cmp_ge_u32 s8, s11
	s_cselect_b32 s3, s9, s3
	s_cselect_b32 s8, s10, s8
	s_add_i32 s9, s3, 1
	s_cmp_ge_u32 s8, s11
	s_cselect_b32 s3, s9, s3
	s_xor_b32 s3, s3, s7
	s_load_dwordx8 s[20:27], s[4:5], 0x90
	s_load_dword s12, s[4:5], 0xb0
	s_sub_i32 s7, s3, s7
	s_load_dword s3, s[0:1], 0x0
	s_load_dword s8, s[4:5], 0x7c
	s_cmp_gt_i32 s7, 0
	s_cselect_b64 s[0:1], -1, 0
	v_mov_b32_e32 v6, v4
	s_waitcnt lgkmcnt(0)
	s_mul_i32 s2, s3, s2
	v_writelane_b32 v62, s8, 14
	s_load_dwordx2 s[70:71], s[4:5], 0x1c
	s_load_dwordx2 s[8:9], s[4:5], 0x30
	s_abs_i32 s3, s15
	v_cvt_f32_u32_e32 v2, s3
	s_abs_i32 s33, s22
	s_waitcnt lgkmcnt(0)
	v_writelane_b32 v62, s8, 15
	v_writelane_b32 v62, s9, 16
	s_load_dwordx2 s[8:9], s[4:5], 0x60
	v_writelane_b32 v62, s7, 17
	s_abs_i32 s7, s16
	v_cvt_f32_u32_e32 v1, s7
	v_rcp_iflag_f32_e32 v2, v2
	s_waitcnt lgkmcnt(0)
	v_writelane_b32 v62, s8, 18
	v_writelane_b32 v62, s9, 19
	s_load_dwordx4 s[8:11], s[4:5], 0x50
	v_rcp_iflag_f32_e32 v1, v1
	s_abs_i32 s4, s14
	v_cvt_f32_u32_e32 v4, s4
	v_mul_f32_e32 v2, 0x4f7ffffe, v2
	s_waitcnt lgkmcnt(0)
	v_writelane_b32 v62, s8, 20
	v_writelane_b32 v62, s9, 21
	v_writelane_b32 v62, s10, 22
	v_writelane_b32 v62, s11, 23
	v_writelane_b32 v62, s2, 24
	v_writelane_b32 v62, s12, 25
	s_lshl_b32 s2, s12, 1
	v_mul_f32_e32 v1, 0x4f7ffffe, v1
	v_writelane_b32 v62, s2, 26
	s_lshl_b32 s2, s27, 1
	v_cvt_u32_f32_e32 v1, v1
	v_writelane_b32 v62, s2, 27
	s_lshl_b32 s2, s26, 1
	v_writelane_b32 v62, s2, 28
	s_ashr_i32 s2, s16, 31
	v_writelane_b32 v62, s2, 29
	s_sub_i32 s2, 0, s7
	v_mul_lo_u32 v3, s2, v1
	v_cvt_u32_f32_e32 v2, v2
	v_rcp_iflag_f32_e32 v4, v4
	s_sub_i32 s2, 0, s3
	v_mul_hi_u32 v3, v1, v3
	v_writelane_b32 v62, s7, 30
	v_writelane_b32 v62, s3, 31
	s_ashr_i32 s3, s14, 31
	v_add_u32_e32 v1, v1, v3
	buffer_store_dword v1, off, s[96:99], 0 offset:256 ; 4-byte Folded Spill
	v_mul_lo_u32 v1, s2, v2
	v_mul_f32_e32 v3, 0x4f7ffffe, v4
	v_cvt_u32_f32_e32 v3, v3
	s_ashr_i32 s2, s15, 31
	v_writelane_b32 v62, s2, 32
	v_mul_hi_u32 v1, v2, v1
	s_sub_i32 s2, 0, s4
	v_mul_lo_u32 v4, s2, v3
	s_abs_i32 s2, s20
	v_cvt_f32_u32_e32 v5, s2
	v_add_u32_e32 v1, v2, v1
	buffer_store_dword v1, off, s[96:99], 0 offset:260 ; 4-byte Folded Spill
	v_mul_hi_u32 v1, v3, v4
	v_mul_lo_u32 v2, s6, v0
	v_rcp_iflag_f32_e32 v4, v5
	v_writelane_b32 v62, s4, 33
	v_writelane_b32 v62, s3, 34
	v_add_u32_e32 v1, v3, v1
	s_abs_i32 s3, s21
	buffer_store_dword v1, off, s[96:99], 0 offset:264 ; 4-byte Folded Spill
	v_mul_hi_u32 v1, v0, v2
	v_cvt_f32_u32_e32 v3, s3
	v_mul_f32_e32 v2, 0x4f7ffffe, v4
	v_cvt_f32_u32_e32 v4, s33
	v_add_u32_e32 v0, v0, v1
	v_rcp_iflag_f32_e32 v3, v3
	buffer_store_dword v0, off, s[96:99], 0 offset:268 ; 4-byte Folded Spill
	v_rcp_iflag_f32_e32 v0, v4
	v_cvt_u32_f32_e32 v2, v2
	v_mul_f32_e32 v3, 0x4f7ffffe, v3
	v_writelane_b32 v62, s2, 35
	s_sub_i32 s2, 0, s2
	v_cvt_u32_f32_e32 v3, v3
	v_mul_f32_e32 v0, 0x4f7ffffe, v0
	v_mul_lo_u32 v5, s2, v2
	v_cvt_u32_f32_e32 v0, v0
	s_sub_i32 s2, 0, s3
	v_mul_lo_u32 v4, s2, v3
	s_sub_i32 s2, 0, s33
	v_mul_hi_u32 v1, v2, v5
	v_writelane_b32 v62, s3, 36
	v_mul_lo_u32 v5, s2, v0
	s_ashr_i32 s2, s20, 31
	v_writelane_b32 v62, s2, 37
	s_ashr_i32 s2, s21, 31
	v_writelane_b32 v62, s2, 38
	v_writelane_b32 v62, s20, 39
	v_add_u32_e32 v1, v2, v1
	v_writelane_b32 v62, s21, 40
	buffer_store_dword v1, off, s[96:99], 0 offset:272 ; 4-byte Folded Spill
	v_mul_hi_u32 v1, v0, v5
	v_writelane_b32 v62, s22, 41
	v_writelane_b32 v62, s23, 42
	;; [unrolled: 1-line block ×5, first 2 shown]
	v_add_u32_e32 v0, v0, v1
	v_writelane_b32 v62, s27, 46
	s_ashr_i32 s2, s22, 31
	buffer_store_dword v0, off, s[96:99], 0 offset:280 ; 4-byte Folded Spill
	v_cndmask_b32_e64 v0, 0, 1, s[0:1]
	v_writelane_b32 v62, s2, 47
	v_cmp_ne_u32_e64 s[0:1], 1, v0
	v_mul_hi_u32 v4, v3, v4
	v_writelane_b32 v62, s0, 48
	v_writelane_b32 v62, s1, 49
	;; [unrolled: 1-line block ×4, first 2 shown]
	v_add_u32_e32 v2, v3, v4
	v_mov_b32_e32 v4, v6
	v_writelane_b32 v62, s70, 52
	v_mov_b32_e32 v5, v7
	s_mov_b64 s[8:9], 0
	v_writelane_b32 v62, s71, 53
	buffer_store_dword v2, off, s[96:99], 0 offset:276 ; 4-byte Folded Spill
.LBB20_2:                               ; =>This Loop Header: Depth=1
                                        ;     Child Loop BB20_5 Depth 2
	buffer_load_dword v1, off, s[96:99], 0 offset:256 ; 4-byte Folded Reload
	v_sub_u32_e32 v0, 0, v4
	v_max_i32_e32 v0, v4, v0
	v_writelane_b32 v62, s8, 54
	v_writelane_b32 v62, s9, 55
	v_readlane_b32 s0, v62, 30
	v_mov_b32_e32 v9, v5
	v_ashrrev_i32_e32 v3, 31, v4
	v_mov_b32_e32 v8, v4
	v_readlane_b32 s1, v62, 29
	v_xor_b32_e32 v3, s1, v3
	v_readlane_b32 s1, v62, 32
	s_waitcnt vmcnt(0)
	v_mul_hi_u32 v1, v0, v1
	v_mul_lo_u32 v2, v1, s0
	v_add_u32_e32 v4, 1, v1
	v_sub_u32_e32 v0, v0, v2
	v_cmp_le_u32_e32 vcc, s0, v0
	v_subrev_u32_e32 v2, s0, v0
	v_cndmask_b32_e32 v1, v1, v4, vcc
	v_cndmask_b32_e32 v0, v0, v2, vcc
	v_add_u32_e32 v2, 1, v1
	v_cmp_le_u32_e32 vcc, s0, v0
	v_cndmask_b32_e32 v0, v1, v2, vcc
	buffer_load_dword v2, off, s[96:99], 0 offset:260 ; 4-byte Folded Reload
	v_xor_b32_e32 v0, v0, v3
	v_sub_u32_e32 v0, v0, v3
	v_sub_u32_e32 v1, 0, v0
	v_max_i32_e32 v1, v0, v1
	v_readlane_b32 s0, v62, 31
	v_ashrrev_i32_e32 v4, 31, v0
	v_xor_b32_e32 v4, s1, v4
	v_readlane_b32 s1, v62, 34
	s_waitcnt vmcnt(0)
	v_mul_hi_u32 v2, v1, v2
	v_mul_lo_u32 v3, v2, s0
	v_add_u32_e32 v5, 1, v2
	v_sub_u32_e32 v1, v1, v3
	v_cmp_le_u32_e32 vcc, s0, v1
	v_subrev_u32_e32 v3, s0, v1
	v_cndmask_b32_e32 v2, v2, v5, vcc
	v_cndmask_b32_e32 v1, v1, v3, vcc
	v_add_u32_e32 v3, 1, v2
	v_cmp_le_u32_e32 vcc, s0, v1
	v_cndmask_b32_e32 v1, v2, v3, vcc
	buffer_load_dword v3, off, s[96:99], 0 offset:264 ; 4-byte Folded Reload
	v_xor_b32_e32 v1, v1, v4
	v_sub_u32_e32 v1, v1, v4
	v_sub_u32_e32 v2, 0, v1
	v_max_i32_e32 v2, v1, v2
	v_readlane_b32 s0, v62, 33
	v_ashrrev_i32_e32 v6, 31, v1
	v_xor_b32_e32 v6, s1, v6
	v_mul_lo_u32 v4, v0, s16
	s_waitcnt vmcnt(0)
	v_mul_hi_u32 v3, v2, v3
	v_mul_lo_u32 v5, v3, s0
	v_add_u32_e32 v7, 1, v3
	v_sub_u32_e32 v2, v2, v5
	v_cmp_le_u32_e32 vcc, s0, v2
	v_subrev_u32_e32 v5, s0, v2
	v_cndmask_b32_e32 v3, v3, v7, vcc
	v_cndmask_b32_e32 v2, v2, v5, vcc
	v_add_u32_e32 v5, 1, v3
	v_cmp_le_u32_e32 vcc, s0, v2
	v_cndmask_b32_e32 v2, v3, v5, vcc
	buffer_load_dword v5, off, s[96:99], 0 offset:268 ; 4-byte Folded Reload
	s_nop 0
	buffer_store_dword v8, off, s[96:99], 0 offset:228 ; 4-byte Folded Spill
	s_nop 0
	buffer_store_dword v9, off, s[96:99], 0 offset:232 ; 4-byte Folded Spill
	v_xor_b32_e32 v2, v2, v6
	v_sub_u32_e32 v2, v2, v6
	v_sub_u32_e32 v3, 0, v2
	v_max_i32_e32 v3, v2, v3
	v_readlane_b32 s0, v62, 1
	v_readlane_b32 s0, v62, 0
	;; [unrolled: 1-line block ×3, first 2 shown]
	v_mul_lo_u32 v7, v2, s2
	v_readlane_b32 s2, v62, 13
	v_readlane_b32 s1, v62, 2
	;; [unrolled: 1-line block ×3, first 2 shown]
	v_sub_u32_e32 v7, v1, v7
	v_sub_u32_e32 v9, v8, v4
	s_waitcnt vmcnt(2)
	v_mul_hi_u32 v5, v3, v5
	v_ashrrev_i32_e32 v8, 31, v2
	v_xor_b32_e32 v8, s2, v8
	v_mul_lo_u32 v4, v1, s3
	v_mul_lo_u32 v6, v5, s0
	v_sub_u32_e32 v3, v3, v6
	v_add_u32_e32 v6, 1, v5
	v_cmp_le_u32_e32 vcc, s0, v3
	v_cndmask_b32_e32 v5, v5, v6, vcc
	v_subrev_u32_e32 v6, s0, v3
	v_cndmask_b32_e32 v3, v3, v6, vcc
	v_add_u32_e32 v6, 1, v5
	v_cmp_le_u32_e32 vcc, s0, v3
	v_cndmask_b32_e32 v3, v5, v6, vcc
	v_xor_b32_e32 v3, v3, v8
	v_sub_u32_e32 v5, v3, v8
	v_mul_lo_u32 v3, v5, s1
	v_readlane_b32 s0, v62, 48
	v_readlane_b32 s1, v62, 49
	v_sub_u32_e32 v8, v0, v4
	s_and_b64 vcc, exec, s[0:1]
	v_sub_u32_e32 v58, v2, v3
	s_cbranch_vccnz .LBB20_60
; %bb.3:                                ;   in Loop: Header=BB20_2 Depth=1
	buffer_load_dword v16, off, s[96:99], 0 offset:272 ; 4-byte Folded Reload
	buffer_load_dword v13, off, s[96:99], 0 offset:276 ; 4-byte Folded Reload
	;; [unrolled: 1-line block ×3, first 2 shown]
	v_readlane_b32 s52, v62, 39
	v_readlane_b32 s55, v62, 42
	buffer_store_dword v7, off, s[96:99], 0 offset:244 ; 4-byte Folded Spill
	v_add_u32_e32 v7, s55, v7
	v_sub_u32_e32 v0, 0, v7
	v_mul_lo_u32 v2, s70, v5
	v_max_i32_e32 v0, v7, v0
	v_readlane_b32 s0, v62, 7
	v_readlane_b32 s1, v62, 8
	buffer_store_dword v5, off, s[96:99], 0 offset:252 ; 4-byte Folded Spill
	v_ashrrev_i32_e32 v3, 31, v2
	v_mov_b32_e32 v5, s1
	v_readlane_b32 s1, v62, 35
	v_lshlrev_b64 v[2:3], 2, v[2:3]
	v_readlane_b32 s56, v62, 43
	buffer_store_dword v8, off, s[96:99], 0 offset:240 ; 4-byte Folded Spill
	v_add_u32_e32 v8, s56, v8
	v_add_co_u32_e32 v2, vcc, s0, v2
	buffer_store_dword v2, off, s[96:99], 0 ; 4-byte Folded Spill
	v_addc_co_u32_e32 v2, vcc, v5, v3, vcc
	v_sub_u32_e32 v5, 0, v8
	v_readlane_b32 s57, v62, 44
	v_max_i32_e32 v5, v8, v5
	buffer_store_dword v9, off, s[96:99], 0 offset:236 ; 4-byte Folded Spill
	v_add_u32_e32 v1, s57, v9
	v_readlane_b32 s2, v62, 36
	buffer_store_dword v2, off, s[96:99], 0 offset:4 ; 4-byte Folded Spill
	v_ashrrev_i32_e32 v2, 31, v7
	v_readlane_b32 s50, v62, 37
	v_xor_b32_e32 v2, s50, v2
	v_readlane_b32 s3, v62, 38
	v_readlane_b32 s0, v62, 27
	v_subrev_u32_e32 v11, s0, v8
	v_readlane_b32 s6, v62, 47
	v_readlane_b32 s59, v62, 46
	v_subrev_u32_e32 v12, s59, v8
	;; [unrolled: 3-line block ×3, first 2 shown]
	v_readlane_b32 s68, v62, 9
	v_readlane_b32 s70, v62, 11
	;; [unrolled: 1-line block ×6, first 2 shown]
                                        ; implicit-def: $vgpr63 : SGPR spill to VGPR lane
	s_waitcnt vmcnt(8)
	v_mul_hi_u32 v4, v0, v16
	s_waitcnt vmcnt(7)
	v_mul_hi_u32 v9, v5, v13
	v_mul_lo_u32 v6, v4, s1
	v_add_u32_e32 v3, 1, v4
	v_sub_u32_e32 v0, v0, v6
	v_cmp_le_u32_e32 vcc, s1, v0
	v_cndmask_b32_e32 v3, v4, v3, vcc
	v_subrev_u32_e32 v4, s1, v0
	v_cndmask_b32_e32 v0, v0, v4, vcc
	v_add_u32_e32 v4, 1, v3
	v_cmp_le_u32_e32 vcc, s1, v0
	v_cndmask_b32_e32 v0, v3, v4, vcc
	v_mul_lo_u32 v3, v9, s2
	v_xor_b32_e32 v0, v0, v2
	v_sub_u32_e32 v6, v0, v2
	v_ashrrev_i32_e32 v0, 31, v8
	v_sub_u32_e32 v2, v5, v3
	v_cmp_le_u32_e32 vcc, s2, v2
	v_subrev_u32_e32 v4, s2, v2
	v_cndmask_b32_e32 v2, v2, v4, vcc
	v_sub_u32_e32 v4, 0, v1
	v_add_u32_e32 v3, 1, v9
	v_max_i32_e32 v5, v1, v4
	v_cndmask_b32_e32 v3, v9, v3, vcc
	s_waitcnt vmcnt(6)
	v_mul_hi_u32 v9, v5, v22
	v_add_u32_e32 v4, 1, v3
	v_cmp_le_u32_e32 vcc, s2, v2
	v_cndmask_b32_e32 v2, v3, v4, vcc
	v_mul_lo_u32 v3, v9, s33
	v_xor_b32_e32 v0, s3, v0
	v_xor_b32_e32 v2, v2, v0
	v_sub_u32_e32 v4, v2, v0
	v_sub_u32_e32 v2, v5, v3
	v_cmp_le_u32_e32 vcc, s33, v2
	v_subrev_u32_e32 v5, s33, v2
	v_add_u32_e32 v3, 1, v9
	v_cndmask_b32_e32 v2, v2, v5, vcc
	v_sub_u32_e32 v5, 0, v11
	v_cndmask_b32_e32 v3, v9, v3, vcc
	v_max_i32_e32 v9, v11, v5
	v_mul_hi_u32 v10, v9, v13
	v_add_u32_e32 v5, 1, v3
	v_cmp_le_u32_e32 vcc, s33, v2
	v_cndmask_b32_e32 v2, v3, v5, vcc
	v_mul_lo_u32 v3, v10, s2
	v_ashrrev_i32_e32 v0, 31, v1
	v_xor_b32_e32 v0, s6, v0
	v_xor_b32_e32 v2, v2, v0
	v_sub_u32_e32 v5, v2, v0
	v_sub_u32_e32 v0, v9, v3
	v_cmp_le_u32_e32 vcc, s2, v0
	v_subrev_u32_e32 v3, s2, v0
	v_cndmask_b32_e32 v0, v0, v3, vcc
	v_sub_u32_e32 v3, 0, v12
	v_add_u32_e32 v2, 1, v10
	v_max_i32_e32 v3, v12, v3
	v_cndmask_b32_e32 v2, v10, v2, vcc
	v_mul_hi_u32 v10, v3, v13
	v_add_u32_e32 v9, 1, v2
	v_ashrrev_i32_e32 v13, 31, v11
	v_cmp_le_u32_e32 vcc, s2, v0
	v_mul_lo_u32 v14, v10, s2
	v_xor_b32_e32 v13, s3, v13
	v_cndmask_b32_e32 v0, v2, v9, vcc
	v_xor_b32_e32 v0, v0, v13
	v_sub_u32_e32 v9, v0, v13
	v_sub_u32_e32 v0, v3, v14
	v_add_u32_e32 v2, 1, v10
	v_cmp_le_u32_e32 vcc, s2, v0
	v_subrev_u32_e32 v14, s0, v7
	v_cndmask_b32_e32 v2, v10, v2, vcc
	v_sub_u32_e32 v10, 0, v14
	v_max_i32_e32 v13, v14, v10
	v_mul_hi_u32 v15, v13, v16
	v_subrev_u32_e32 v3, s2, v0
	v_cndmask_b32_e32 v0, v0, v3, vcc
	v_add_u32_e32 v3, 1, v2
	v_cmp_le_u32_e32 vcc, s2, v0
	v_cndmask_b32_e32 v0, v2, v3, vcc
	v_mul_lo_u32 v3, v15, s1
	v_ashrrev_i32_e32 v2, 31, v12
	v_xor_b32_e32 v2, s3, v2
	v_xor_b32_e32 v0, v0, v2
	v_sub_u32_e32 v10, v0, v2
	v_sub_u32_e32 v0, v13, v3
	;; [unrolled: 1-line block ×3, first 2 shown]
	v_max_i32_e32 v3, v17, v3
	v_mul_hi_u32 v13, v3, v16
	v_add_u32_e32 v2, 1, v15
	v_cmp_le_u32_e32 vcc, s1, v0
	v_cndmask_b32_e32 v2, v15, v2, vcc
	v_subrev_u32_e32 v15, s1, v0
	v_cndmask_b32_e32 v0, v0, v15, vcc
	v_mul_lo_u32 v15, v13, s1
	v_add_u32_e32 v16, 1, v2
	v_cmp_le_u32_e32 vcc, s1, v0
	v_cndmask_b32_e32 v20, v2, v16, vcc
	v_sub_u32_e32 v0, v3, v15
	v_add_u32_e32 v2, 1, v13
	v_cmp_le_u32_e32 vcc, s1, v0
	v_subrev_u32_e32 v3, s1, v0
	v_cndmask_b32_e32 v2, v13, v2, vcc
	v_cndmask_b32_e32 v0, v0, v3, vcc
	v_readlane_b32 s0, v62, 25
	v_add_u32_e32 v3, 1, v2
	v_cmp_le_u32_e32 vcc, s1, v0
	v_subrev_u32_e32 v18, s0, v1
	v_cndmask_b32_e32 v0, v2, v3, vcc
	v_sub_u32_e32 v3, 0, v18
	v_max_i32_e32 v3, v18, v3
	v_mul_hi_u32 v13, v3, v22
	v_ashrrev_i32_e32 v2, 31, v17
	v_xor_b32_e32 v2, s50, v2
	v_xor_b32_e32 v0, v0, v2
	v_sub_u32_e32 v15, v0, v2
	v_mul_lo_u32 v0, v13, s33
	v_or_b32_e32 v21, v5, v4
	v_or_b32_e32 v2, v21, v6
	v_cmp_lt_i32_e32 vcc, -1, v2
	v_sub_u32_e32 v0, v3, v0
	v_add_u32_e32 v2, 1, v13
	v_cmp_le_u32_e64 s[2:3], s33, v0
	v_subrev_u32_e32 v3, s33, v0
	v_cndmask_b32_e64 v2, v13, v2, s[2:3]
	v_cndmask_b32_e64 v0, v0, v3, s[2:3]
	v_readlane_b32 s0, v62, 26
	v_add_u32_e32 v3, 1, v2
	v_cmp_le_u32_e64 s[2:3], s33, v0
	v_subrev_u32_e32 v19, s0, v1
	v_cndmask_b32_e64 v0, v2, v3, s[2:3]
	v_sub_u32_e32 v3, 0, v19
	v_max_i32_e32 v3, v19, v3
	v_mul_hi_u32 v16, v3, v22
	v_ashrrev_i32_e32 v2, 31, v18
	v_xor_b32_e32 v2, s6, v2
	v_xor_b32_e32 v0, v0, v2
	v_sub_u32_e32 v13, v0, v2
	v_mul_lo_u32 v0, v16, s33
	v_or_b32_e32 v22, v13, v4
	v_or_b32_e32 v2, v22, v6
	v_cmp_lt_i32_e64 s[2:3], -1, v2
	v_sub_u32_e32 v0, v3, v0
	v_add_u32_e32 v2, 1, v16
	v_cmp_le_u32_e64 s[4:5], s33, v0
	v_subrev_u32_e32 v3, s33, v0
	v_cndmask_b32_e64 v2, v16, v2, s[4:5]
	v_cndmask_b32_e64 v0, v0, v3, s[4:5]
	v_add_u32_e32 v3, 1, v2
	v_cmp_le_u32_e64 s[4:5], s33, v0
	v_cndmask_b32_e64 v0, v2, v3, s[4:5]
	v_ashrrev_i32_e32 v2, 31, v19
	v_xor_b32_e32 v2, s6, v2
	v_xor_b32_e32 v0, v0, v2
	v_sub_u32_e32 v16, v0, v2
	v_cmp_gt_i32_e64 s[26:27], s70, v4
	v_cmp_gt_i32_e64 s[28:29], s71, v5
	;; [unrolled: 1-line block ×4, first 2 shown]
	s_and_b64 s[48:49], s[28:29], s[26:27]
	s_and_b64 s[46:47], s[30:31], s[26:27]
	s_and_b64 s[44:45], s[34:35], s[26:27]
	v_cmp_gt_i32_e64 s[26:27], s70, v10
	s_and_b64 s[42:43], s[28:29], s[26:27]
	s_and_b64 s[40:41], s[30:31], s[26:27]
	s_and_b64 s[38:39], s[34:35], s[26:27]
	v_cmp_gt_i32_e64 s[26:27], s70, v9
	;; [unrolled: 4-line block ×3, first 2 shown]
	s_and_b64 s[30:31], s[48:49], vcc
	s_and_b64 s[30:31], s[30:31], s[26:27]
	v_or_b32_e32 v25, v16, v4
	v_writelane_b32 v62, s30, 56
	s_and_b64 s[2:3], s[46:47], s[2:3]
	v_or_b32_e32 v0, v25, v6
	v_writelane_b32 v62, s31, 57
	s_and_b64 s[2:3], s[2:3], s[26:27]
	v_cmp_lt_i32_e64 s[4:5], -1, v0
	v_writelane_b32 v62, s2, 58
	v_or_b32_e32 v24, v5, v10
	v_writelane_b32 v62, s3, 59
	s_and_b64 s[2:3], s[44:45], s[4:5]
	v_or_b32_e32 v0, v24, v6
	s_and_b64 s[2:3], s[2:3], s[26:27]
	v_cmp_lt_i32_e64 s[6:7], -1, v0
	v_writelane_b32 v62, s2, 60
	v_or_b32_e32 v28, v13, v10
	v_writelane_b32 v62, s3, 61
	s_and_b64 s[2:3], s[42:43], s[6:7]
	v_or_b32_e32 v0, v28, v6
	;; [unrolled: 7-line block ×4, first 2 shown]
	s_and_b64 s[2:3], s[2:3], s[26:27]
	v_cmp_lt_i32_e64 s[16:17], -1, v0
	v_or_b32_e32 v26, v13, v9
	v_writelane_b32 v63, s2, 2
	v_or_b32_e32 v0, v26, v6
	v_or_b32_e32 v27, v16, v9
	v_writelane_b32 v63, s3, 3
	s_and_b64 s[2:3], s[36:37], s[16:17]
	v_cmp_lt_i32_e64 s[20:21], -1, v0
	v_or_b32_e32 v0, v27, v6
	s_and_b64 s[2:3], s[2:3], s[26:27]
	v_cmp_lt_i32_e64 s[22:23], -1, v0
	v_or_b32_e32 v0, v21, v15
	v_writelane_b32 v63, s2, 4
	v_cmp_lt_i32_e64 s[12:13], -1, v0
	v_or_b32_e32 v0, v22, v15
	v_writelane_b32 v63, s3, 5
	s_and_b64 s[2:3], s[28:29], s[20:21]
	v_cmp_lt_i32_e64 s[14:15], -1, v0
	v_or_b32_e32 v0, v25, v15
	s_and_b64 s[2:3], s[2:3], s[26:27]
	v_cmp_lt_i32_e64 s[18:19], -1, v0
	v_or_b32_e32 v0, v24, v15
	v_writelane_b32 v63, s2, 6
	v_readlane_b32 s68, v62, 17
	v_cmp_lt_i32_e64 s[24:25], -1, v0
	v_writelane_b32 v63, s3, 7
	s_and_b64 s[2:3], s[0:1], s[22:23]
	v_mul_lo_u32 v0, v58, s68
	s_and_b64 s[2:3], s[2:3], s[26:27]
	v_writelane_b32 v63, s2, 8
	v_writelane_b32 v63, s3, 9
	v_or_b32_e32 v2, v28, v15
	v_readlane_b32 s2, v62, 14
	v_cmp_lt_i32_e32 vcc, -1, v2
	v_mul_lo_u32 v2, s2, v0
	v_cmp_gt_i32_e64 s[6:7], s69, v15
	s_and_b64 s[8:9], s[48:49], s[12:13]
	v_or_b32_e32 v3, v29, v15
	s_and_b64 s[8:9], s[8:9], s[6:7]
	v_cmp_lt_i32_e64 s[2:3], -1, v3
	v_or_b32_e32 v3, v23, v15
	v_writelane_b32 v63, s8, 10
	v_cmp_lt_i32_e64 s[4:5], -1, v3
	v_ashrrev_i32_e32 v3, 31, v2
	v_writelane_b32 v63, s9, 11
	s_and_b64 s[8:9], s[46:47], s[14:15]
	v_readlane_b32 s10, v62, 18
	v_lshlrev_b64 v[2:3], 2, v[2:3]
	s_and_b64 s[76:77], s[8:9], s[6:7]
	s_and_b64 s[8:9], s[44:45], s[18:19]
	v_readlane_b32 s11, v62, 19
	s_and_b64 s[78:79], s[8:9], s[6:7]
	s_and_b64 s[8:9], s[42:43], s[24:25]
	v_mov_b32_e32 v30, s11
	s_and_b64 s[90:91], s[8:9], s[6:7]
	s_and_b64 s[8:9], s[40:41], vcc
	v_add_co_u32_e32 v2, vcc, s10, v2
	v_addc_co_u32_e32 v3, vcc, v30, v3, vcc
	v_ashrrev_i32_e32 v30, 31, v14
	v_xor_b32_e32 v30, s50, v30
	v_or_b32_e32 v31, v26, v15
	s_and_b64 s[2:3], s[38:39], s[2:3]
	v_xor_b32_e32 v20, v20, v30
	v_or_b32_e32 v32, v27, v15
	s_and_b64 s[62:63], s[2:3], s[6:7]
	s_and_b64 s[2:3], s[36:37], s[4:5]
	v_cmp_lt_i32_e32 vcc, -1, v31
	v_sub_u32_e32 v20, v20, v30
	s_and_b64 s[64:65], s[2:3], s[6:7]
	s_and_b64 s[2:3], s[28:29], vcc
	v_cmp_lt_i32_e32 vcc, -1, v32
	v_or_b32_e32 v21, v21, v20
	s_and_b64 s[66:67], s[2:3], s[6:7]
	s_and_b64 s[2:3], s[0:1], vcc
	v_cmp_lt_i32_e32 vcc, -1, v21
	v_or_b32_e32 v21, v22, v20
	;; [unrolled: 4-line block ×3, first 2 shown]
	s_and_b64 s[10:11], s[46:47], vcc
	v_cmp_lt_i32_e32 vcc, -1, v21
	v_or_b32_e32 v21, v24, v20
	s_and_b64 s[12:13], s[44:45], vcc
	v_cmp_lt_i32_e32 vcc, -1, v21
	v_or_b32_e32 v21, v28, v20
	;; [unrolled: 3-line block ×3, first 2 shown]
	s_and_b64 s[16:17], s[40:41], vcc
	v_cmp_lt_i32_e32 vcc, -1, v21
	v_mul_lo_u32 v21, v6, s52
	v_mul_lo_u32 v22, v4, s53
	;; [unrolled: 1-line block ×5, first 2 shown]
	s_and_b64 s[18:19], s[38:39], vcc
	v_cmp_eq_u32_e32 vcc, v21, v7
	v_mul_lo_u32 v7, v20, s52
	s_and_b64 s[72:73], s[2:3], s[6:7]
	v_cmp_eq_u32_e64 s[2:3], v22, v8
	v_cmp_eq_u32_e64 s[4:5], v24, v12
	;; [unrolled: 1-line block ×3, first 2 shown]
	s_and_b64 s[20:21], vcc, s[2:3]
	s_and_b64 s[22:23], vcc, s[4:5]
	;; [unrolled: 1-line block ×3, first 2 shown]
	v_cmp_eq_u32_e32 vcc, v28, v17
	s_and_b64 s[26:27], vcc, s[2:3]
	s_and_b64 s[30:31], vcc, s[4:5]
	;; [unrolled: 1-line block ×3, first 2 shown]
	v_cmp_eq_u32_e32 vcc, v7, v14
	v_or_b32_e32 v7, v23, v20
	s_and_b64 s[44:45], vcc, s[2:3]
	s_and_b64 s[50:51], vcc, s[4:5]
	;; [unrolled: 1-line block ×3, first 2 shown]
	v_cmp_lt_i32_e32 vcc, -1, v7
	v_or_b32_e32 v7, v26, v20
	s_and_b64 s[2:3], s[36:37], vcc
	v_cmp_lt_i32_e32 vcc, -1, v7
	v_or_b32_e32 v7, v27, v20
	s_and_b64 s[4:5], s[28:29], vcc
	v_cmp_lt_i32_e32 vcc, -1, v7
	v_mul_lo_u32 v7, v5, s54
	s_and_b64 s[6:7], s[0:1], vcc
	v_cmp_gt_i32_e32 vcc, s69, v20
	s_and_b64 s[74:75], s[8:9], vcc
	s_and_b64 s[84:85], s[10:11], vcc
	;; [unrolled: 1-line block ×9, first 2 shown]
	v_cmp_eq_u32_e32 vcc, v7, v1
	v_mul_lo_u32 v1, v6, s70
	v_mul_lo_u32 v8, v13, s54
	;; [unrolled: 1-line block ×3, first 2 shown]
	s_and_b64 s[2:3], s[20:21], vcc
	v_add_u32_e32 v6, v4, v1
	v_cmp_eq_u32_e64 s[54:55], v8, v18
	v_mul_lo_u32 v8, v6, s71
	v_cmp_eq_u32_e64 s[56:57], v11, v19
	v_add_u32_e32 v12, v10, v1
	v_mul_lo_u32 v14, v12, s71
	v_add_u32_e32 v6, v5, v8
	v_ashrrev_i32_e32 v7, 31, v6
	v_lshlrev_b64 v[6:7], 2, v[6:7]
	v_add_u32_e32 v11, v13, v8
	v_ashrrev_i32_e32 v12, 31, v11
	buffer_store_dword v6, off, s[96:99], 0 offset:12 ; 4-byte Folded Spill
	s_nop 0
	buffer_store_dword v7, off, s[96:99], 0 offset:16 ; 4-byte Folded Spill
	v_lshlrev_b64 v[6:7], 2, v[11:12]
	v_add_u32_e32 v17, v16, v8
	v_ashrrev_i32_e32 v18, 31, v17
	buffer_store_dword v6, off, s[96:99], 0 offset:20 ; 4-byte Folded Spill
	s_nop 0
	buffer_store_dword v7, off, s[96:99], 0 offset:24 ; 4-byte Folded Spill
	;; [unrolled: 6-line block ×3, first 2 shown]
	v_lshlrev_b64 v[6:7], 2, v[21:22]
	v_add_u32_e32 v23, v13, v14
	v_ashrrev_i32_e32 v24, 31, v23
	v_add_u32_e32 v1, v9, v1
	buffer_store_dword v6, off, s[96:99], 0 offset:36 ; 4-byte Folded Spill
	s_nop 0
	buffer_store_dword v7, off, s[96:99], 0 offset:40 ; 4-byte Folded Spill
	v_mul_lo_u32 v1, v1, s71
	v_lshlrev_b64 v[6:7], 2, v[23:24]
	v_add_u32_e32 v25, v16, v14
	v_ashrrev_i32_e32 v26, 31, v25
	buffer_store_dword v6, off, s[96:99], 0 offset:44 ; 4-byte Folded Spill
	s_nop 0
	buffer_store_dword v7, off, s[96:99], 0 offset:48 ; 4-byte Folded Spill
	v_lshlrev_b64 v[6:7], 2, v[25:26]
	v_mul_lo_u32 v8, v15, s70
	v_add_u32_e32 v14, v5, v1
	v_ashrrev_i32_e32 v15, 31, v14
	buffer_store_dword v6, off, s[96:99], 0 offset:52 ; 4-byte Folded Spill
	s_nop 0
	buffer_store_dword v7, off, s[96:99], 0 offset:56 ; 4-byte Folded Spill
	v_lshlrev_b64 v[6:7], 2, v[14:15]
	v_add_u32_e32 v27, v13, v1
	v_add_u32_e32 v19, v4, v8
	v_ashrrev_i32_e32 v28, 31, v27
	buffer_store_dword v6, off, s[96:99], 0 offset:60 ; 4-byte Folded Spill
	s_nop 0
	buffer_store_dword v7, off, s[96:99], 0 offset:64 ; 4-byte Folded Spill
	v_mul_lo_u32 v19, v19, s71
	v_lshlrev_b64 v[6:7], 2, v[27:28]
	v_add_u32_e32 v29, v16, v1
	v_ashrrev_i32_e32 v30, 31, v29
	buffer_store_dword v6, off, s[96:99], 0 offset:68 ; 4-byte Folded Spill
	s_nop 0
	buffer_store_dword v7, off, s[96:99], 0 offset:72 ; 4-byte Folded Spill
	v_lshlrev_b64 v[6:7], 2, v[29:30]
	v_add_u32_e32 v31, v5, v19
	v_ashrrev_i32_e32 v32, 31, v31
	buffer_store_dword v6, off, s[96:99], 0 offset:76 ; 4-byte Folded Spill
	s_nop 0
	buffer_store_dword v7, off, s[96:99], 0 offset:80 ; 4-byte Folded Spill
	v_lshlrev_b64 v[6:7], 2, v[31:32]
	v_add_u32_e32 v33, v13, v19
	v_add_u32_e32 v1, v10, v8
	v_ashrrev_i32_e32 v34, 31, v33
	buffer_store_dword v6, off, s[96:99], 0 offset:84 ; 4-byte Folded Spill
	s_nop 0
	buffer_store_dword v7, off, s[96:99], 0 offset:88 ; 4-byte Folded Spill
	v_mul_lo_u32 v1, v1, s71
	v_lshlrev_b64 v[6:7], 2, v[33:34]
	v_add_u32_e32 v35, v16, v19
	v_ashrrev_i32_e32 v36, 31, v35
	buffer_store_dword v6, off, s[96:99], 0 offset:92 ; 4-byte Folded Spill
	s_nop 0
	buffer_store_dword v7, off, s[96:99], 0 offset:96 ; 4-byte Folded Spill
	v_lshlrev_b64 v[6:7], 2, v[35:36]
	v_add_u32_e32 v37, v5, v1
	v_ashrrev_i32_e32 v38, 31, v37
	buffer_store_dword v6, off, s[96:99], 0 offset:100 ; 4-byte Folded Spill
	s_nop 0
	buffer_store_dword v7, off, s[96:99], 0 offset:104 ; 4-byte Folded Spill
	v_lshlrev_b64 v[6:7], 2, v[37:38]
	v_add_u32_e32 v39, v13, v1
	v_ashrrev_i32_e32 v40, 31, v39
	v_add_u32_e32 v8, v9, v8
	buffer_store_dword v6, off, s[96:99], 0 offset:108 ; 4-byte Folded Spill
	s_nop 0
	buffer_store_dword v7, off, s[96:99], 0 offset:112 ; 4-byte Folded Spill
	v_mul_lo_u32 v8, v8, s71
	v_lshlrev_b64 v[6:7], 2, v[39:40]
	v_add_u32_e32 v41, v16, v1
	v_ashrrev_i32_e32 v42, 31, v41
	buffer_store_dword v6, off, s[96:99], 0 offset:116 ; 4-byte Folded Spill
	s_nop 0
	buffer_store_dword v7, off, s[96:99], 0 offset:120 ; 4-byte Folded Spill
	v_lshlrev_b64 v[6:7], 2, v[41:42]
	v_mul_lo_u32 v1, v20, s70
	v_add_u32_e32 v19, v5, v8
	v_ashrrev_i32_e32 v20, 31, v19
	buffer_store_dword v6, off, s[96:99], 0 offset:124 ; 4-byte Folded Spill
	s_nop 0
	buffer_store_dword v7, off, s[96:99], 0 offset:128 ; 4-byte Folded Spill
	v_lshlrev_b64 v[6:7], 2, v[19:20]
	v_add_u32_e32 v43, v13, v8
	v_add_u32_e32 v4, v4, v1
	v_ashrrev_i32_e32 v44, 31, v43
	buffer_store_dword v6, off, s[96:99], 0 offset:132 ; 4-byte Folded Spill
	s_nop 0
	buffer_store_dword v7, off, s[96:99], 0 offset:136 ; 4-byte Folded Spill
	v_mul_lo_u32 v4, v4, s71
	v_lshlrev_b64 v[6:7], 2, v[43:44]
	v_add_u32_e32 v45, v16, v8
	v_ashrrev_i32_e32 v46, 31, v45
	buffer_store_dword v6, off, s[96:99], 0 offset:140 ; 4-byte Folded Spill
	s_nop 0
	buffer_store_dword v7, off, s[96:99], 0 offset:144 ; 4-byte Folded Spill
	v_lshlrev_b64 v[6:7], 2, v[45:46]
	v_add_u32_e32 v47, v5, v4
	v_ashrrev_i32_e32 v48, 31, v47
	buffer_store_dword v6, off, s[96:99], 0 offset:148 ; 4-byte Folded Spill
	s_nop 0
	buffer_store_dword v7, off, s[96:99], 0 offset:152 ; 4-byte Folded Spill
	v_lshlrev_b64 v[6:7], 2, v[47:48]
	v_add_u32_e32 v49, v13, v4
	v_ashrrev_i32_e32 v50, 31, v49
	v_add_u32_e32 v8, v10, v1
	buffer_store_dword v6, off, s[96:99], 0 offset:156 ; 4-byte Folded Spill
	s_nop 0
	buffer_store_dword v7, off, s[96:99], 0 offset:160 ; 4-byte Folded Spill
	v_mul_lo_u32 v10, v8, s71
	v_lshlrev_b64 v[6:7], 2, v[49:50]
	v_add_u32_e32 v8, v16, v4
	v_add_u32_e32 v1, v9, v1
	v_ashrrev_i32_e32 v9, 31, v8
	buffer_store_dword v6, off, s[96:99], 0 offset:164 ; 4-byte Folded Spill
	s_nop 0
	buffer_store_dword v7, off, s[96:99], 0 offset:168 ; 4-byte Folded Spill
	v_lshlrev_b64 v[6:7], 2, v[8:9]
	v_add_u32_e32 v51, v5, v10
	v_ashrrev_i32_e32 v52, 31, v51
	buffer_store_dword v6, off, s[96:99], 0 offset:172 ; 4-byte Folded Spill
	s_nop 0
	buffer_store_dword v7, off, s[96:99], 0 offset:176 ; 4-byte Folded Spill
	v_mul_lo_u32 v1, v1, s71
	v_lshlrev_b64 v[6:7], 2, v[51:52]
	v_add_u32_e32 v53, v13, v10
	v_ashrrev_i32_e32 v54, 31, v53
	buffer_store_dword v6, off, s[96:99], 0 offset:180 ; 4-byte Folded Spill
	s_nop 0
	buffer_store_dword v7, off, s[96:99], 0 offset:184 ; 4-byte Folded Spill
	v_lshlrev_b64 v[6:7], 2, v[53:54]
	v_add_u32_e32 v55, v16, v10
	v_add_u32_e32 v4, v5, v1
	v_ashrrev_i32_e32 v56, 31, v55
	v_ashrrev_i32_e32 v5, 31, v4
	buffer_store_dword v6, off, s[96:99], 0 offset:188 ; 4-byte Folded Spill
	s_nop 0
	buffer_store_dword v7, off, s[96:99], 0 offset:192 ; 4-byte Folded Spill
	v_lshlrev_b64 v[6:7], 2, v[55:56]
	v_lshlrev_b64 v[4:5], 2, v[4:5]
	v_add_u32_e32 v57, v13, v1
	v_mov_b32_e32 v10, v58
	v_ashrrev_i32_e32 v58, 31, v57
	buffer_store_dword v6, off, s[96:99], 0 offset:196 ; 4-byte Folded Spill
	s_nop 0
	buffer_store_dword v7, off, s[96:99], 0 offset:200 ; 4-byte Folded Spill
	buffer_store_dword v4, off, s[96:99], 0 offset:204 ; 4-byte Folded Spill
	s_nop 0
	buffer_store_dword v5, off, s[96:99], 0 offset:208 ; 4-byte Folded Spill
	v_lshlrev_b64 v[4:5], 2, v[57:58]
	v_readlane_b32 s70, v62, 52
	v_add_u32_e32 v59, v16, v1
	v_readlane_b32 s71, v62, 53
	v_ashrrev_i32_e32 v60, 31, v59
	buffer_store_dword v4, off, s[96:99], 0 offset:212 ; 4-byte Folded Spill
	s_nop 0
	buffer_store_dword v5, off, s[96:99], 0 offset:216 ; 4-byte Folded Spill
	v_lshlrev_b64 v[4:5], 2, v[59:60]
	v_add_u32_e32 v60, s68, v0
	s_mul_i32 s68, s71, s68
	v_mul_lo_u32 v58, s68, v10
	s_and_b64 s[4:5], s[20:21], s[54:55]
	s_and_b64 s[6:7], s[20:21], s[56:57]
	s_and_b64 s[8:9], s[22:23], vcc
	s_and_b64 s[10:11], s[22:23], s[54:55]
	s_and_b64 s[12:13], s[22:23], s[56:57]
	s_and_b64 s[14:15], s[24:25], vcc
	;; [unrolled: 3-line block ×8, first 2 shown]
	s_and_b64 s[54:55], s[58:59], s[54:55]
	s_and_b64 s[56:57], s[58:59], s[56:57]
	s_mov_b64 s[58:59], 0
	v_mov_b32_e32 v1, 0
	buffer_store_dword v4, off, s[96:99], 0 offset:220 ; 4-byte Folded Spill
	s_nop 0
	buffer_store_dword v5, off, s[96:99], 0 offset:224 ; 4-byte Folded Spill
	buffer_store_dword v10, off, s[96:99], 0 offset:248 ; 4-byte Folded Spill
	s_branch .LBB20_5
.LBB20_4:                               ;   in Loop: Header=BB20_5 Depth=2
	s_or_b64 exec, exec, s[68:69]
	s_waitcnt vmcnt(26)
	v_fma_f32 v4, v61, v59, v1
	v_cndmask_b32_e64 v1, v1, v4, s[2:3]
	s_waitcnt vmcnt(25)
	v_fma_f32 v4, v6, v8, v1
	v_cndmask_b32_e64 v1, v1, v4, s[4:5]
	;; [unrolled: 3-line block ×23, first 2 shown]
	v_fma_f32 v4, v50, v52, v1
	v_cndmask_b32_e64 v1, v1, v4, s[50:51]
	v_fma_f32 v4, v53, v51, v1
	v_cndmask_b32_e64 v1, v1, v4, s[52:53]
	v_fma_f32 v4, v54, v56, v1
	v_add_co_u32_e32 v2, vcc, 0x6c, v2
	v_cndmask_b32_e64 v1, v1, v4, s[54:55]
	v_addc_co_u32_e32 v3, vcc, 0, v3, vcc
	v_add_u32_e32 v0, 1, v0
	s_waitcnt vmcnt(0)
	v_fma_f32 v4, v57, v55, v1
	v_cmp_ge_i32_e32 vcc, v0, v60
	v_cndmask_b32_e64 v1, v1, v4, s[56:57]
	s_or_b64 s[58:59], vcc, s[58:59]
	v_add_u32_e32 v58, s71, v58
	s_andn2_b64 exec, exec, s[58:59]
	s_cbranch_execz .LBB20_59
.LBB20_5:                               ;   Parent Loop BB20_2 Depth=1
                                        ; =>  This Inner Loop Header: Depth=2
	buffer_load_dword v6, off, s[96:99], 0  ; 4-byte Folded Reload
	v_ashrrev_i32_e32 v59, 31, v58
	v_lshlrev_b64 v[4:5], 2, v[58:59]
	global_load_dword v61, v[2:3], off
	v_mov_b32_e32 v59, 0
	s_waitcnt vmcnt(1)
	v_add_co_u32_e32 v4, vcc, v6, v4
	buffer_load_dword v6, off, s[96:99], 0 offset:4 ; 4-byte Folded Reload
	s_waitcnt vmcnt(0)
	v_addc_co_u32_e32 v5, vcc, v6, v5, vcc
	s_mov_b64 s[68:69], exec
	v_readlane_b32 vcc_lo, v62, 56
	v_readlane_b32 vcc_hi, v62, 57
	s_and_b64 vcc, s[68:69], vcc
	s_mov_b64 exec, vcc
	s_cbranch_execz .LBB20_7
; %bb.6:                                ;   in Loop: Header=BB20_5 Depth=2
	buffer_load_dword v6, off, s[96:99], 0 offset:12 ; 4-byte Folded Reload
	buffer_load_dword v7, off, s[96:99], 0 offset:16 ; 4-byte Folded Reload
	s_waitcnt vmcnt(1)
	v_add_co_u32_e32 v6, vcc, v4, v6
	s_waitcnt vmcnt(0)
	v_addc_co_u32_e32 v7, vcc, v5, v7, vcc
	global_load_dword v59, v[6:7], off
.LBB20_7:                               ;   in Loop: Header=BB20_5 Depth=2
	s_or_b64 exec, exec, s[68:69]
	global_load_dword v6, v[2:3], off offset:4
	v_mov_b32_e32 v7, 0
	v_mov_b32_e32 v8, 0
	s_mov_b64 s[68:69], exec
	v_readlane_b32 vcc_lo, v62, 58
	v_readlane_b32 vcc_hi, v62, 59
	s_and_b64 vcc, s[68:69], vcc
	s_mov_b64 exec, vcc
	s_cbranch_execz .LBB20_9
; %bb.8:                                ;   in Loop: Header=BB20_5 Depth=2
	buffer_load_dword v8, off, s[96:99], 0 offset:20 ; 4-byte Folded Reload
	buffer_load_dword v9, off, s[96:99], 0 offset:24 ; 4-byte Folded Reload
	s_waitcnt vmcnt(1)
	v_add_co_u32_e32 v8, vcc, v4, v8
	s_waitcnt vmcnt(0)
	v_addc_co_u32_e32 v9, vcc, v5, v9, vcc
	global_load_dword v8, v[8:9], off
.LBB20_9:                               ;   in Loop: Header=BB20_5 Depth=2
	s_or_b64 exec, exec, s[68:69]
	global_load_dword v9, v[2:3], off offset:8
	s_mov_b64 s[68:69], exec
	v_readlane_b32 vcc_lo, v62, 60
	v_readlane_b32 vcc_hi, v62, 61
	s_and_b64 vcc, s[68:69], vcc
	s_mov_b64 exec, vcc
	s_cbranch_execz .LBB20_11
; %bb.10:                               ;   in Loop: Header=BB20_5 Depth=2
	buffer_load_dword v10, off, s[96:99], 0 offset:28 ; 4-byte Folded Reload
	buffer_load_dword v11, off, s[96:99], 0 offset:32 ; 4-byte Folded Reload
	s_waitcnt vmcnt(1)
	v_add_co_u32_e32 v10, vcc, v4, v10
	s_waitcnt vmcnt(0)
	v_addc_co_u32_e32 v11, vcc, v5, v11, vcc
	global_load_dword v7, v[10:11], off
.LBB20_11:                              ;   in Loop: Header=BB20_5 Depth=2
	s_or_b64 exec, exec, s[68:69]
	global_load_dword v10, v[2:3], off offset:12
	v_mov_b32_e32 v11, 0
	v_mov_b32_e32 v12, 0
	s_mov_b64 s[68:69], exec
	v_readlane_b32 vcc_lo, v62, 62
	v_readlane_b32 vcc_hi, v62, 63
	s_and_b64 vcc, s[68:69], vcc
	s_mov_b64 exec, vcc
	s_cbranch_execz .LBB20_13
; %bb.12:                               ;   in Loop: Header=BB20_5 Depth=2
	buffer_load_dword v12, off, s[96:99], 0 offset:36 ; 4-byte Folded Reload
	buffer_load_dword v13, off, s[96:99], 0 offset:40 ; 4-byte Folded Reload
	s_waitcnt vmcnt(1)
	v_add_co_u32_e32 v12, vcc, v4, v12
	s_waitcnt vmcnt(0)
	v_addc_co_u32_e32 v13, vcc, v5, v13, vcc
	global_load_dword v12, v[12:13], off
.LBB20_13:                              ;   in Loop: Header=BB20_5 Depth=2
	s_or_b64 exec, exec, s[68:69]
	global_load_dword v13, v[2:3], off offset:16
	s_mov_b64 s[68:69], exec
	v_readlane_b32 vcc_lo, v63, 0
	v_readlane_b32 vcc_hi, v63, 1
	s_and_b64 vcc, s[68:69], vcc
	s_mov_b64 exec, vcc
	s_cbranch_execz .LBB20_15
; %bb.14:                               ;   in Loop: Header=BB20_5 Depth=2
	buffer_load_dword v14, off, s[96:99], 0 offset:44 ; 4-byte Folded Reload
	buffer_load_dword v15, off, s[96:99], 0 offset:48 ; 4-byte Folded Reload
	s_waitcnt vmcnt(1)
	v_add_co_u32_e32 v14, vcc, v4, v14
	s_waitcnt vmcnt(0)
	v_addc_co_u32_e32 v15, vcc, v5, v15, vcc
	global_load_dword v11, v[14:15], off
.LBB20_15:                              ;   in Loop: Header=BB20_5 Depth=2
	s_or_b64 exec, exec, s[68:69]
	global_load_dword v14, v[2:3], off offset:20
	v_mov_b32_e32 v15, 0
	v_mov_b32_e32 v16, 0
	s_mov_b64 s[68:69], exec
	v_readlane_b32 vcc_lo, v63, 2
	v_readlane_b32 vcc_hi, v63, 3
	s_and_b64 vcc, s[68:69], vcc
	s_mov_b64 exec, vcc
	s_cbranch_execz .LBB20_17
; %bb.16:                               ;   in Loop: Header=BB20_5 Depth=2
	buffer_load_dword v16, off, s[96:99], 0 offset:52 ; 4-byte Folded Reload
	buffer_load_dword v17, off, s[96:99], 0 offset:56 ; 4-byte Folded Reload
	s_waitcnt vmcnt(1)
	v_add_co_u32_e32 v16, vcc, v4, v16
	s_waitcnt vmcnt(0)
	v_addc_co_u32_e32 v17, vcc, v5, v17, vcc
	global_load_dword v16, v[16:17], off
.LBB20_17:                              ;   in Loop: Header=BB20_5 Depth=2
	;; [unrolled: 36-line block ×4, first 2 shown]
	s_or_b64 exec, exec, s[68:69]
	global_load_dword v25, v[2:3], off offset:40
	s_and_saveexec_b64 s[68:69], s[76:77]
	s_cbranch_execz .LBB20_27
; %bb.26:                               ;   in Loop: Header=BB20_5 Depth=2
	buffer_load_dword v26, off, s[96:99], 0 offset:92 ; 4-byte Folded Reload
	buffer_load_dword v27, off, s[96:99], 0 offset:96 ; 4-byte Folded Reload
	s_waitcnt vmcnt(1)
	v_add_co_u32_e32 v26, vcc, v4, v26
	s_waitcnt vmcnt(0)
	v_addc_co_u32_e32 v27, vcc, v5, v27, vcc
	global_load_dword v23, v[26:27], off
.LBB20_27:                              ;   in Loop: Header=BB20_5 Depth=2
	s_or_b64 exec, exec, s[68:69]
	global_load_dword v26, v[2:3], off offset:44
	v_mov_b32_e32 v27, 0
	v_mov_b32_e32 v28, 0
	s_and_saveexec_b64 s[68:69], s[78:79]
	s_cbranch_execz .LBB20_29
; %bb.28:                               ;   in Loop: Header=BB20_5 Depth=2
	buffer_load_dword v28, off, s[96:99], 0 offset:100 ; 4-byte Folded Reload
	buffer_load_dword v29, off, s[96:99], 0 offset:104 ; 4-byte Folded Reload
	s_waitcnt vmcnt(1)
	v_add_co_u32_e32 v28, vcc, v4, v28
	s_waitcnt vmcnt(0)
	v_addc_co_u32_e32 v29, vcc, v5, v29, vcc
	global_load_dword v28, v[28:29], off
.LBB20_29:                              ;   in Loop: Header=BB20_5 Depth=2
	s_or_b64 exec, exec, s[68:69]
	global_load_dword v29, v[2:3], off offset:48
	s_and_saveexec_b64 s[68:69], s[90:91]
	s_cbranch_execz .LBB20_31
; %bb.30:                               ;   in Loop: Header=BB20_5 Depth=2
	buffer_load_dword v30, off, s[96:99], 0 offset:108 ; 4-byte Folded Reload
	buffer_load_dword v31, off, s[96:99], 0 offset:112 ; 4-byte Folded Reload
	s_waitcnt vmcnt(1)
	v_add_co_u32_e32 v30, vcc, v4, v30
	s_waitcnt vmcnt(0)
	v_addc_co_u32_e32 v31, vcc, v5, v31, vcc
	global_load_dword v27, v[30:31], off
.LBB20_31:                              ;   in Loop: Header=BB20_5 Depth=2
	s_or_b64 exec, exec, s[68:69]
	global_load_dword v30, v[2:3], off offset:52
	v_mov_b32_e32 v31, 0
	v_mov_b32_e32 v32, 0
	s_and_saveexec_b64 s[68:69], s[60:61]
	s_cbranch_execz .LBB20_33
; %bb.32:                               ;   in Loop: Header=BB20_5 Depth=2
	buffer_load_dword v32, off, s[96:99], 0 offset:116 ; 4-byte Folded Reload
	buffer_load_dword v33, off, s[96:99], 0 offset:120 ; 4-byte Folded Reload
	s_waitcnt vmcnt(1)
	v_add_co_u32_e32 v32, vcc, v4, v32
	s_waitcnt vmcnt(0)
	v_addc_co_u32_e32 v33, vcc, v5, v33, vcc
	global_load_dword v32, v[32:33], off
.LBB20_33:                              ;   in Loop: Header=BB20_5 Depth=2
	;; [unrolled: 28-line block ×8, first 2 shown]
	s_or_b64 exec, exec, s[68:69]
	global_load_dword v57, v[2:3], off offset:104
	s_and_saveexec_b64 s[68:69], s[86:87]
	s_cbranch_execz .LBB20_4
; %bb.58:                               ;   in Loop: Header=BB20_5 Depth=2
	s_waitcnt vmcnt(4)
	buffer_store_dword v49, off, s[96:99], 0 offset:8 ; 4-byte Folded Spill
	v_mov_b32_e32 v55, v60
	v_mov_b32_e32 v49, v44
	v_mov_b32_e32 v44, v43
	v_mov_b32_e32 v43, v46
	v_mov_b32_e32 v46, v40
	v_mov_b32_e32 v40, v39
	v_mov_b32_e32 v39, v45
	v_mov_b32_e32 v45, v42
	v_mov_b32_e32 v42, v36
	v_mov_b32_e32 v36, v35
	v_mov_b32_e32 v35, v41
	v_mov_b32_e32 v41, v32
	v_mov_b32_e32 v32, v31
	v_mov_b32_e32 v31, v38
	v_mov_b32_e32 v38, v37
	v_mov_b32_e32 v37, v28
	v_mov_b32_e32 v28, v1
	v_mov_b32_e32 v1, v27
	v_mov_b32_e32 v27, v34
	v_mov_b32_e32 v34, v33
	v_mov_b32_e32 v33, v24
	v_mov_b32_e32 v24, v23
	v_mov_b32_e32 v23, v0
	v_mov_b32_e32 v0, v30
	v_mov_b32_e32 v30, v20
	v_mov_b32_e32 v20, v29
	v_mov_b32_e32 v29, v19
	v_mov_b32_e32 v19, v26
	v_mov_b32_e32 v26, v16
	v_mov_b32_e32 v16, v15
	v_mov_b32_e32 v15, v25
	v_mov_b32_e32 v25, v22
	v_mov_b32_e32 v22, v12
	v_mov_b32_e32 v12, v11
	v_mov_b32_e32 v11, v21
	v_mov_b32_e32 v21, v8
	v_mov_b32_e32 v8, v18
	v_mov_b32_e32 v18, v7
	v_mov_b32_e32 v7, v59
	v_mov_b32_e32 v59, v17
	v_mov_b32_e32 v17, v14
	v_mov_b32_e32 v14, v13
	v_mov_b32_e32 v13, v10
	v_mov_b32_e32 v10, v9
	v_mov_b32_e32 v9, v6
	v_mov_b32_e32 v6, v61
	buffer_load_dword v60, off, s[96:99], 0 offset:220 ; 4-byte Folded Reload
	buffer_load_dword v61, off, s[96:99], 0 offset:224 ; 4-byte Folded Reload
	s_waitcnt vmcnt(1)
	v_add_co_u32_e32 v4, vcc, v4, v60
	s_waitcnt vmcnt(0)
	v_addc_co_u32_e32 v5, vcc, v5, v61, vcc
	v_mov_b32_e32 v60, v55
	v_mov_b32_e32 v61, v6
	;; [unrolled: 1-line block ×46, first 2 shown]
	buffer_load_dword v49, off, s[96:99], 0 offset:8 ; 4-byte Folded Reload
	global_load_dword v55, v[4:5], off
	s_branch .LBB20_4
.LBB20_59:                              ;   in Loop: Header=BB20_2 Depth=1
	s_or_b64 exec, exec, s[58:59]
	buffer_load_dword v9, off, s[96:99], 0 offset:236 ; 4-byte Folded Reload
	buffer_load_dword v8, off, s[96:99], 0 offset:240 ; 4-byte Folded Reload
	;; [unrolled: 1-line block ×5, first 2 shown]
	v_readlane_b32 s16, v62, 50
	v_readlane_b32 s17, v62, 51
	s_branch .LBB20_61
.LBB20_60:                              ;   in Loop: Header=BB20_2 Depth=1
	v_mov_b32_e32 v1, 0
.LBB20_61:                              ;   in Loop: Header=BB20_2 Depth=1
	v_readlane_b32 s8, v62, 54
	v_readlane_b32 s9, v62, 55
; %bb.62:                               ;   in Loop: Header=BB20_2 Depth=1
	s_waitcnt vmcnt(0)
	v_mul_lo_u32 v2, v5, s17
	v_readlane_b32 s4, v62, 20
	v_mul_lo_u32 v4, s4, v58
	v_readlane_b32 s0, v62, 15
	v_ashrrev_i32_e32 v3, 31, v2
	v_lshlrev_b64 v[2:3], 2, v[2:3]
	v_readlane_b32 s1, v62, 16
	v_mov_b32_e32 v0, s1
	v_readlane_b32 s5, v62, 21
	v_add_co_u32_e32 v6, vcc, s0, v2
	v_ashrrev_i32_e32 v5, 31, v4
	v_addc_co_u32_e32 v0, vcc, v0, v3, vcc
	v_lshlrev_b64 v[2:3], 2, v[4:5]
	v_mul_lo_u32 v4, s5, v7
	v_readlane_b32 s6, v62, 22
	v_add_co_u32_e32 v6, vcc, v6, v2
	v_ashrrev_i32_e32 v5, 31, v4
	v_addc_co_u32_e32 v0, vcc, v0, v3, vcc
	v_lshlrev_b64 v[2:3], 2, v[4:5]
	v_mul_lo_u32 v4, s6, v8
	;; [unrolled: 6-line block ×3, first 2 shown]
	v_add_co_u32_e32 v6, vcc, v6, v2
	v_addc_co_u32_e32 v0, vcc, v0, v3, vcc
	v_ashrrev_i32_e32 v5, 31, v4
	v_lshlrev_b64 v[2:3], 2, v[4:5]
	buffer_load_dword v4, off, s[96:99], 0 offset:228 ; 4-byte Folded Reload
	buffer_load_dword v5, off, s[96:99], 0 offset:232 ; 4-byte Folded Reload
	v_readlane_b32 s0, v62, 24
	v_add_co_u32_e64 v2, s[2:3], v6, v2
	v_addc_co_u32_e64 v3, s[2:3], v0, v3, s[2:3]
	global_store_dword v[2:3], v1, off
	s_waitcnt vmcnt(2)
	v_add_co_u32_e32 v4, vcc, s0, v4
	v_readlane_b32 s0, v62, 5
	s_waitcnt vmcnt(1)
	v_addc_co_u32_e32 v5, vcc, 0, v5, vcc
	v_readlane_b32 s1, v62, 6
	v_cmp_le_i64_e32 vcc, s[0:1], v[4:5]
	s_or_b64 s[8:9], vcc, s[8:9]
	s_andn2_b64 exec, exec, s[8:9]
	s_cbranch_execnz .LBB20_2
.LBB20_63:
	s_endpgm
	.section	.rodata,"a",@progbits
	.p2align	6, 0x0
	.amdhsa_kernel _ZN2at6native12_GLOBAL__N_143conv_depthwise3d_cuda_backward_input_kernelIffLi3ELi3ELi3ELin1ELin1ELin1ELin1ELin1ELin1EEEvN5torch10headeronly6detail27GenericPackedTensorAccessorINS5_14TensorAccessorIN3c108ArrayRefIlEEKT_Lm4ENS4_16DefaultPtrTraitsEiEENS_6detail16IndexBoundsCheckILm5EiEESC_Lm5ESD_iEENS6_INS7_ISA_SB_Lm4ESD_iEESH_SB_Lm5ESD_iEESI_iiiiiiiii
		.amdhsa_group_segment_fixed_size 0
		.amdhsa_private_segment_fixed_size 288
		.amdhsa_kernarg_size 440
		.amdhsa_user_sgpr_count 6
		.amdhsa_user_sgpr_private_segment_buffer 1
		.amdhsa_user_sgpr_dispatch_ptr 0
		.amdhsa_user_sgpr_queue_ptr 0
		.amdhsa_user_sgpr_kernarg_segment_ptr 1
		.amdhsa_user_sgpr_dispatch_id 0
		.amdhsa_user_sgpr_flat_scratch_init 0
		.amdhsa_user_sgpr_private_segment_size 0
		.amdhsa_uses_dynamic_stack 0
		.amdhsa_system_sgpr_private_segment_wavefront_offset 1
		.amdhsa_system_sgpr_workgroup_id_x 1
		.amdhsa_system_sgpr_workgroup_id_y 0
		.amdhsa_system_sgpr_workgroup_id_z 0
		.amdhsa_system_sgpr_workgroup_info 0
		.amdhsa_system_vgpr_workitem_id 0
		.amdhsa_next_free_vgpr 64
		.amdhsa_next_free_sgpr 100
		.amdhsa_reserve_vcc 1
		.amdhsa_reserve_flat_scratch 0
		.amdhsa_float_round_mode_32 0
		.amdhsa_float_round_mode_16_64 0
		.amdhsa_float_denorm_mode_32 3
		.amdhsa_float_denorm_mode_16_64 3
		.amdhsa_dx10_clamp 1
		.amdhsa_ieee_mode 1
		.amdhsa_fp16_overflow 0
		.amdhsa_exception_fp_ieee_invalid_op 0
		.amdhsa_exception_fp_denorm_src 0
		.amdhsa_exception_fp_ieee_div_zero 0
		.amdhsa_exception_fp_ieee_overflow 0
		.amdhsa_exception_fp_ieee_underflow 0
		.amdhsa_exception_fp_ieee_inexact 0
		.amdhsa_exception_int_div_zero 0
	.end_amdhsa_kernel
	.section	.text._ZN2at6native12_GLOBAL__N_143conv_depthwise3d_cuda_backward_input_kernelIffLi3ELi3ELi3ELin1ELin1ELin1ELin1ELin1ELin1EEEvN5torch10headeronly6detail27GenericPackedTensorAccessorINS5_14TensorAccessorIN3c108ArrayRefIlEEKT_Lm4ENS4_16DefaultPtrTraitsEiEENS_6detail16IndexBoundsCheckILm5EiEESC_Lm5ESD_iEENS6_INS7_ISA_SB_Lm4ESD_iEESH_SB_Lm5ESD_iEESI_iiiiiiiii,"axG",@progbits,_ZN2at6native12_GLOBAL__N_143conv_depthwise3d_cuda_backward_input_kernelIffLi3ELi3ELi3ELin1ELin1ELin1ELin1ELin1ELin1EEEvN5torch10headeronly6detail27GenericPackedTensorAccessorINS5_14TensorAccessorIN3c108ArrayRefIlEEKT_Lm4ENS4_16DefaultPtrTraitsEiEENS_6detail16IndexBoundsCheckILm5EiEESC_Lm5ESD_iEENS6_INS7_ISA_SB_Lm4ESD_iEESH_SB_Lm5ESD_iEESI_iiiiiiiii,comdat
.Lfunc_end20:
	.size	_ZN2at6native12_GLOBAL__N_143conv_depthwise3d_cuda_backward_input_kernelIffLi3ELi3ELi3ELin1ELin1ELin1ELin1ELin1ELin1EEEvN5torch10headeronly6detail27GenericPackedTensorAccessorINS5_14TensorAccessorIN3c108ArrayRefIlEEKT_Lm4ENS4_16DefaultPtrTraitsEiEENS_6detail16IndexBoundsCheckILm5EiEESC_Lm5ESD_iEENS6_INS7_ISA_SB_Lm4ESD_iEESH_SB_Lm5ESD_iEESI_iiiiiiiii, .Lfunc_end20-_ZN2at6native12_GLOBAL__N_143conv_depthwise3d_cuda_backward_input_kernelIffLi3ELi3ELi3ELin1ELin1ELin1ELin1ELin1ELin1EEEvN5torch10headeronly6detail27GenericPackedTensorAccessorINS5_14TensorAccessorIN3c108ArrayRefIlEEKT_Lm4ENS4_16DefaultPtrTraitsEiEENS_6detail16IndexBoundsCheckILm5EiEESC_Lm5ESD_iEENS6_INS7_ISA_SB_Lm4ESD_iEESH_SB_Lm5ESD_iEESI_iiiiiiiii
                                        ; -- End function
	.set _ZN2at6native12_GLOBAL__N_143conv_depthwise3d_cuda_backward_input_kernelIffLi3ELi3ELi3ELin1ELin1ELin1ELin1ELin1ELin1EEEvN5torch10headeronly6detail27GenericPackedTensorAccessorINS5_14TensorAccessorIN3c108ArrayRefIlEEKT_Lm4ENS4_16DefaultPtrTraitsEiEENS_6detail16IndexBoundsCheckILm5EiEESC_Lm5ESD_iEENS6_INS7_ISA_SB_Lm4ESD_iEESH_SB_Lm5ESD_iEESI_iiiiiiiii.num_vgpr, 64
	.set _ZN2at6native12_GLOBAL__N_143conv_depthwise3d_cuda_backward_input_kernelIffLi3ELi3ELi3ELin1ELin1ELin1ELin1ELin1ELin1EEEvN5torch10headeronly6detail27GenericPackedTensorAccessorINS5_14TensorAccessorIN3c108ArrayRefIlEEKT_Lm4ENS4_16DefaultPtrTraitsEiEENS_6detail16IndexBoundsCheckILm5EiEESC_Lm5ESD_iEENS6_INS7_ISA_SB_Lm4ESD_iEESH_SB_Lm5ESD_iEESI_iiiiiiiii.num_agpr, 0
	.set _ZN2at6native12_GLOBAL__N_143conv_depthwise3d_cuda_backward_input_kernelIffLi3ELi3ELi3ELin1ELin1ELin1ELin1ELin1ELin1EEEvN5torch10headeronly6detail27GenericPackedTensorAccessorINS5_14TensorAccessorIN3c108ArrayRefIlEEKT_Lm4ENS4_16DefaultPtrTraitsEiEENS_6detail16IndexBoundsCheckILm5EiEESC_Lm5ESD_iEENS6_INS7_ISA_SB_Lm4ESD_iEESH_SB_Lm5ESD_iEESI_iiiiiiiii.numbered_sgpr, 100
	.set _ZN2at6native12_GLOBAL__N_143conv_depthwise3d_cuda_backward_input_kernelIffLi3ELi3ELi3ELin1ELin1ELin1ELin1ELin1ELin1EEEvN5torch10headeronly6detail27GenericPackedTensorAccessorINS5_14TensorAccessorIN3c108ArrayRefIlEEKT_Lm4ENS4_16DefaultPtrTraitsEiEENS_6detail16IndexBoundsCheckILm5EiEESC_Lm5ESD_iEENS6_INS7_ISA_SB_Lm4ESD_iEESH_SB_Lm5ESD_iEESI_iiiiiiiii.num_named_barrier, 0
	.set _ZN2at6native12_GLOBAL__N_143conv_depthwise3d_cuda_backward_input_kernelIffLi3ELi3ELi3ELin1ELin1ELin1ELin1ELin1ELin1EEEvN5torch10headeronly6detail27GenericPackedTensorAccessorINS5_14TensorAccessorIN3c108ArrayRefIlEEKT_Lm4ENS4_16DefaultPtrTraitsEiEENS_6detail16IndexBoundsCheckILm5EiEESC_Lm5ESD_iEENS6_INS7_ISA_SB_Lm4ESD_iEESH_SB_Lm5ESD_iEESI_iiiiiiiii.private_seg_size, 288
	.set _ZN2at6native12_GLOBAL__N_143conv_depthwise3d_cuda_backward_input_kernelIffLi3ELi3ELi3ELin1ELin1ELin1ELin1ELin1ELin1EEEvN5torch10headeronly6detail27GenericPackedTensorAccessorINS5_14TensorAccessorIN3c108ArrayRefIlEEKT_Lm4ENS4_16DefaultPtrTraitsEiEENS_6detail16IndexBoundsCheckILm5EiEESC_Lm5ESD_iEENS6_INS7_ISA_SB_Lm4ESD_iEESH_SB_Lm5ESD_iEESI_iiiiiiiii.uses_vcc, 1
	.set _ZN2at6native12_GLOBAL__N_143conv_depthwise3d_cuda_backward_input_kernelIffLi3ELi3ELi3ELin1ELin1ELin1ELin1ELin1ELin1EEEvN5torch10headeronly6detail27GenericPackedTensorAccessorINS5_14TensorAccessorIN3c108ArrayRefIlEEKT_Lm4ENS4_16DefaultPtrTraitsEiEENS_6detail16IndexBoundsCheckILm5EiEESC_Lm5ESD_iEENS6_INS7_ISA_SB_Lm4ESD_iEESH_SB_Lm5ESD_iEESI_iiiiiiiii.uses_flat_scratch, 0
	.set _ZN2at6native12_GLOBAL__N_143conv_depthwise3d_cuda_backward_input_kernelIffLi3ELi3ELi3ELin1ELin1ELin1ELin1ELin1ELin1EEEvN5torch10headeronly6detail27GenericPackedTensorAccessorINS5_14TensorAccessorIN3c108ArrayRefIlEEKT_Lm4ENS4_16DefaultPtrTraitsEiEENS_6detail16IndexBoundsCheckILm5EiEESC_Lm5ESD_iEENS6_INS7_ISA_SB_Lm4ESD_iEESH_SB_Lm5ESD_iEESI_iiiiiiiii.has_dyn_sized_stack, 0
	.set _ZN2at6native12_GLOBAL__N_143conv_depthwise3d_cuda_backward_input_kernelIffLi3ELi3ELi3ELin1ELin1ELin1ELin1ELin1ELin1EEEvN5torch10headeronly6detail27GenericPackedTensorAccessorINS5_14TensorAccessorIN3c108ArrayRefIlEEKT_Lm4ENS4_16DefaultPtrTraitsEiEENS_6detail16IndexBoundsCheckILm5EiEESC_Lm5ESD_iEENS6_INS7_ISA_SB_Lm4ESD_iEESH_SB_Lm5ESD_iEESI_iiiiiiiii.has_recursion, 0
	.set _ZN2at6native12_GLOBAL__N_143conv_depthwise3d_cuda_backward_input_kernelIffLi3ELi3ELi3ELin1ELin1ELin1ELin1ELin1ELin1EEEvN5torch10headeronly6detail27GenericPackedTensorAccessorINS5_14TensorAccessorIN3c108ArrayRefIlEEKT_Lm4ENS4_16DefaultPtrTraitsEiEENS_6detail16IndexBoundsCheckILm5EiEESC_Lm5ESD_iEENS6_INS7_ISA_SB_Lm4ESD_iEESH_SB_Lm5ESD_iEESI_iiiiiiiii.has_indirect_call, 0
	.section	.AMDGPU.csdata,"",@progbits
; Kernel info:
; codeLenInByte = 8472
; TotalNumSgprs: 104
; NumVgprs: 64
; ScratchSize: 288
; MemoryBound: 0
; FloatMode: 240
; IeeeMode: 1
; LDSByteSize: 0 bytes/workgroup (compile time only)
; SGPRBlocks: 12
; VGPRBlocks: 15
; NumSGPRsForWavesPerEU: 104
; NumVGPRsForWavesPerEU: 64
; Occupancy: 4
; WaveLimiterHint : 0
; COMPUTE_PGM_RSRC2:SCRATCH_EN: 1
; COMPUTE_PGM_RSRC2:USER_SGPR: 6
; COMPUTE_PGM_RSRC2:TRAP_HANDLER: 0
; COMPUTE_PGM_RSRC2:TGID_X_EN: 1
; COMPUTE_PGM_RSRC2:TGID_Y_EN: 0
; COMPUTE_PGM_RSRC2:TGID_Z_EN: 0
; COMPUTE_PGM_RSRC2:TIDIG_COMP_CNT: 0
	.section	.text._ZN2at6native12_GLOBAL__N_143conv_depthwise3d_cuda_backward_input_kernelIffLin1ELin1ELin1ELin1ELin1ELin1ELin1ELin1ELin1EEEvN5torch10headeronly6detail27GenericPackedTensorAccessorINS5_14TensorAccessorIN3c108ArrayRefIlEEKT_Lm4ENS4_16DefaultPtrTraitsEiEENS_6detail16IndexBoundsCheckILm5EiEESC_Lm5ESD_iEENS6_INS7_ISA_SB_Lm4ESD_iEESH_SB_Lm5ESD_iEESI_iiiiiiiii,"axG",@progbits,_ZN2at6native12_GLOBAL__N_143conv_depthwise3d_cuda_backward_input_kernelIffLin1ELin1ELin1ELin1ELin1ELin1ELin1ELin1ELin1EEEvN5torch10headeronly6detail27GenericPackedTensorAccessorINS5_14TensorAccessorIN3c108ArrayRefIlEEKT_Lm4ENS4_16DefaultPtrTraitsEiEENS_6detail16IndexBoundsCheckILm5EiEESC_Lm5ESD_iEENS6_INS7_ISA_SB_Lm4ESD_iEESH_SB_Lm5ESD_iEESI_iiiiiiiii,comdat
	.globl	_ZN2at6native12_GLOBAL__N_143conv_depthwise3d_cuda_backward_input_kernelIffLin1ELin1ELin1ELin1ELin1ELin1ELin1ELin1ELin1EEEvN5torch10headeronly6detail27GenericPackedTensorAccessorINS5_14TensorAccessorIN3c108ArrayRefIlEEKT_Lm4ENS4_16DefaultPtrTraitsEiEENS_6detail16IndexBoundsCheckILm5EiEESC_Lm5ESD_iEENS6_INS7_ISA_SB_Lm4ESD_iEESH_SB_Lm5ESD_iEESI_iiiiiiiii ; -- Begin function _ZN2at6native12_GLOBAL__N_143conv_depthwise3d_cuda_backward_input_kernelIffLin1ELin1ELin1ELin1ELin1ELin1ELin1ELin1ELin1EEEvN5torch10headeronly6detail27GenericPackedTensorAccessorINS5_14TensorAccessorIN3c108ArrayRefIlEEKT_Lm4ENS4_16DefaultPtrTraitsEiEENS_6detail16IndexBoundsCheckILm5EiEESC_Lm5ESD_iEENS6_INS7_ISA_SB_Lm4ESD_iEESH_SB_Lm5ESD_iEESI_iiiiiiiii
	.p2align	8
	.type	_ZN2at6native12_GLOBAL__N_143conv_depthwise3d_cuda_backward_input_kernelIffLin1ELin1ELin1ELin1ELin1ELin1ELin1ELin1ELin1EEEvN5torch10headeronly6detail27GenericPackedTensorAccessorINS5_14TensorAccessorIN3c108ArrayRefIlEEKT_Lm4ENS4_16DefaultPtrTraitsEiEENS_6detail16IndexBoundsCheckILm5EiEESC_Lm5ESD_iEENS6_INS7_ISA_SB_Lm4ESD_iEESH_SB_Lm5ESD_iEESI_iiiiiiiii,@function
_ZN2at6native12_GLOBAL__N_143conv_depthwise3d_cuda_backward_input_kernelIffLin1ELin1ELin1ELin1ELin1ELin1ELin1ELin1ELin1EEEvN5torch10headeronly6detail27GenericPackedTensorAccessorINS5_14TensorAccessorIN3c108ArrayRefIlEEKT_Lm4ENS4_16DefaultPtrTraitsEiEENS_6detail16IndexBoundsCheckILm5EiEESC_Lm5ESD_iEENS6_INS7_ISA_SB_Lm4ESD_iEESH_SB_Lm5ESD_iEESI_iiiiiiiii: ; @_ZN2at6native12_GLOBAL__N_143conv_depthwise3d_cuda_backward_input_kernelIffLin1ELin1ELin1ELin1ELin1ELin1ELin1ELin1ELin1EEEvN5torch10headeronly6detail27GenericPackedTensorAccessorINS5_14TensorAccessorIN3c108ArrayRefIlEEKT_Lm4ENS4_16DefaultPtrTraitsEiEENS_6detail16IndexBoundsCheckILm5EiEESC_Lm5ESD_iEENS6_INS7_ISA_SB_Lm4ESD_iEESH_SB_Lm5ESD_iEESI_iiiiiiiii
; %bb.0:
	s_load_dwordx4 s[20:23], s[4:5], 0x38
	s_load_dwordx2 s[34:35], s[4:5], 0x48
	s_load_dword s0, s[4:5], 0xc4
	v_mov_b32_e32 v1, 0
	v_mov_b32_e32 v3, s6
	s_waitcnt lgkmcnt(0)
	s_abs_i32 s33, s21
	v_cvt_f32_u32_e32 v2, s33
	s_add_u32 s2, s4, 0xb8
	s_addc_u32 s3, s5, 0
	s_and_b32 s6, s0, 0xffff
	v_rcp_iflag_f32_e32 v2, v2
	v_mad_u64_u32 v[0:1], s[0:1], s6, v3, v[0:1]
	s_mul_i32 s40, s35, s20
	v_mul_f32_e32 v2, 0x4f7ffffe, v2
	v_cvt_u32_f32_e32 v2, v2
	s_ashr_i32 s41, s40, 31
	v_cmp_gt_i64_e32 vcc, s[40:41], v[0:1]
	v_readfirstlane_b32 s0, v2
	s_and_saveexec_b64 s[8:9], vcc
	s_cbranch_execz .LBB21_19
; %bb.1:
	s_load_dwordx4 s[24:27], s[4:5], 0xc
	s_load_dwordx2 s[42:43], s[4:5], 0x0
	s_sub_i32 s7, 0, s33
	s_mul_i32 s9, s7, s0
	s_mul_hi_u32 s9, s0, s9
	s_waitcnt lgkmcnt(0)
	s_abs_i32 s8, s24
	s_add_i32 s0, s0, s9
	s_mul_hi_u32 s0, s8, s0
	s_mul_i32 s9, s0, s33
	s_ashr_i32 s20, s21, 31
	s_ashr_i32 s1, s24, 31
	s_sub_i32 s8, s8, s9
	s_xor_b32 s1, s1, s20
	s_add_i32 s9, s0, 1
	s_sub_i32 s10, s8, s33
	s_cmp_ge_u32 s8, s33
	s_cselect_b32 s0, s9, s0
	s_load_dwordx8 s[12:19], s[4:5], 0x90
	s_load_dword s24, s[4:5], 0xb0
	s_load_dwordx4 s[28:31], s[4:5], 0x70
	s_cselect_b32 s8, s10, s8
	s_add_i32 s9, s0, 1
	s_cmp_ge_u32 s8, s33
	s_cselect_b32 s0, s9, s0
	s_xor_b32 s0, s0, s1
	s_waitcnt lgkmcnt(0)
	s_sub_i32 s31, s0, s1
	s_cmp_gt_i32 s28, 0
	s_cselect_b64 s[44:45], -1, 0
	s_cmp_gt_i32 s29, 0
	s_cselect_b64 s[46:47], -1, 0
	;; [unrolled: 2-line block ×4, first 2 shown]
	s_abs_i32 s65, s34
	v_cvt_f32_u32_e32 v3, s65
	s_abs_i32 s67, s23
	v_cvt_f32_u32_e32 v4, s67
	s_load_dword s8, s[2:3], 0x0
	s_load_dwordx2 s[50:51], s[4:5], 0x1c
                                        ; kill: killed $sgpr2 killed $sgpr3
	s_load_dwordx2 s[52:53], s[4:5], 0x30
	v_rcp_iflag_f32_e32 v3, v3
	s_sub_i32 s2, 0, s65
	s_abs_i32 s69, s22
	v_rcp_iflag_f32_e32 v4, v4
	v_mul_f32_e32 v3, 0x4f7ffffe, v3
	v_cvt_u32_f32_e32 v3, v3
	v_cvt_f32_u32_e32 v6, s69
	v_mul_f32_e32 v4, 0x4f7ffffe, v4
	v_cvt_u32_f32_e32 v7, v4
	v_mul_lo_u32 v5, s2, v3
	v_rcp_iflag_f32_e32 v6, v6
	s_sub_i32 s2, 0, s67
	s_abs_i32 s71, s12
	v_mul_hi_u32 v5, v3, v5
	v_cvt_f32_u32_e32 v9, s71
	s_abs_i32 s73, s13
	s_abs_i32 s74, s14
	v_add_u32_e32 v4, v3, v5
	v_mul_f32_e32 v5, 0x4f7ffffe, v6
	v_mul_lo_u32 v3, s2, v7
	v_cvt_u32_f32_e32 v6, v5
	s_sub_i32 s2, 0, s69
	s_load_dword s64, s[4:5], 0x7c
	v_mul_hi_u32 v3, v7, v3
	v_mul_lo_u32 v8, s2, v6
	s_sub_i32 s2, 0, s71
	s_load_dwordx2 s[54:55], s[4:5], 0x60
	s_load_dwordx4 s[36:39], s[4:5], 0x50
	v_add_u32_e32 v5, v7, v3
	v_mul_hi_u32 v3, v6, v8
	v_mul_lo_u32 v7, s7, v2
	v_rcp_iflag_f32_e32 v8, v9
	v_cvt_f32_u32_e32 v9, s74
	v_add_u32_e32 v6, v6, v3
	v_mul_hi_u32 v3, v2, v7
	v_mul_f32_e32 v7, 0x4f7ffffe, v8
	v_cvt_u32_f32_e32 v8, v7
	v_cvt_f32_u32_e32 v7, s73
	s_waitcnt lgkmcnt(0)
	s_mul_i32 s66, s8, s6
	s_ashr_i32 s68, s34, 31
	v_mul_lo_u32 v10, s2, v8
	v_rcp_iflag_f32_e32 v11, v7
	v_add_u32_e32 v7, v2, v3
	v_rcp_iflag_f32_e32 v2, v9
	s_sub_i32 s2, 0, s73
	v_mul_f32_e32 v9, 0x4f7ffffe, v11
	v_cvt_u32_f32_e32 v9, v9
	v_mul_f32_e32 v2, 0x4f7ffffe, v2
	v_cvt_u32_f32_e32 v2, v2
	v_mul_hi_u32 v3, v8, v10
	v_mul_lo_u32 v10, s2, v9
	s_sub_i32 s2, 0, s74
	v_mul_lo_u32 v11, s2, v2
	v_add_u32_e32 v8, v8, v3
	v_mul_hi_u32 v10, v9, v10
	s_ashr_i32 s70, s23, 31
	v_mul_hi_u32 v3, v2, v11
	s_ashr_i32 s72, s22, 31
	v_add_u32_e32 v9, v9, v10
	s_ashr_i32 s75, s12, 31
	v_add_u32_e32 v10, v2, v3
	v_cndmask_b32_e64 v2, 0, 1, s[0:1]
	s_ashr_i32 s76, s13, 31
	s_ashr_i32 s77, s14, 31
	s_mov_b64 s[56:57], 0
	v_cmp_ne_u32_e64 s[0:1], 1, v2
	s_branch .LBB21_4
.LBB21_2:                               ;   in Loop: Header=BB21_4 Depth=1
	s_or_b64 exec, exec, s[58:59]
.LBB21_3:                               ;   in Loop: Header=BB21_4 Depth=1
	v_mul_lo_u32 v2, v16, s35
	v_mul_lo_u32 v15, s36, v15
	v_mov_b32_e32 v16, s53
	v_mul_lo_u32 v12, s38, v12
	v_ashrrev_i32_e32 v3, 31, v2
	v_lshlrev_b64 v[2:3], 2, v[2:3]
	v_mul_lo_u32 v11, s39, v11
	v_add_co_u32_e32 v17, vcc, s52, v2
	v_addc_co_u32_e32 v18, vcc, v16, v3, vcc
	v_ashrrev_i32_e32 v16, 31, v15
	v_lshlrev_b64 v[2:3], 2, v[15:16]
	v_mul_lo_u32 v15, s37, v13
	v_add_co_u32_e32 v13, vcc, v17, v2
	v_addc_co_u32_e32 v17, vcc, v18, v3, vcc
	v_ashrrev_i32_e32 v16, 31, v15
	v_lshlrev_b64 v[2:3], 2, v[15:16]
	v_add_co_u32_e32 v15, vcc, v13, v2
	v_ashrrev_i32_e32 v13, 31, v12
	v_addc_co_u32_e32 v16, vcc, v17, v3, vcc
	v_lshlrev_b64 v[2:3], 2, v[12:13]
	v_ashrrev_i32_e32 v12, 31, v11
	v_add_co_u32_e32 v13, vcc, v15, v2
	v_addc_co_u32_e32 v15, vcc, v16, v3, vcc
	v_add_co_u32_e32 v0, vcc, s66, v0
	v_lshlrev_b64 v[2:3], 2, v[11:12]
	v_addc_co_u32_e32 v1, vcc, 0, v1, vcc
	v_cmp_le_i64_e32 vcc, s[40:41], v[0:1]
	v_add_co_u32_e64 v2, s[2:3], v13, v2
	v_addc_co_u32_e64 v3, s[2:3], v15, v3, s[2:3]
	s_or_b64 s[56:57], vcc, s[56:57]
	global_store_dword v[2:3], v14, off
	s_andn2_b64 exec, exec, s[56:57]
	s_cbranch_execz .LBB21_19
.LBB21_4:                               ; =>This Loop Header: Depth=1
                                        ;     Child Loop BB21_7 Depth 2
                                        ;       Child Loop BB21_10 Depth 3
                                        ;         Child Loop BB21_13 Depth 4
                                        ;           Child Loop BB21_16 Depth 5
	v_sub_u32_e32 v2, 0, v0
	v_max_i32_e32 v2, v0, v2
	v_mul_hi_u32 v3, v2, v4
	v_ashrrev_i32_e32 v12, 31, v0
	v_xor_b32_e32 v12, s68, v12
	v_mul_lo_u32 v11, v3, s65
	v_add_u32_e32 v13, 1, v3
	v_sub_u32_e32 v2, v2, v11
	v_cmp_le_u32_e32 vcc, s65, v2
	v_subrev_u32_e32 v11, s65, v2
	v_cndmask_b32_e32 v3, v3, v13, vcc
	v_cndmask_b32_e32 v2, v2, v11, vcc
	v_add_u32_e32 v11, 1, v3
	v_cmp_le_u32_e32 vcc, s65, v2
	v_cndmask_b32_e32 v2, v3, v11, vcc
	v_xor_b32_e32 v2, v2, v12
	v_sub_u32_e32 v2, v2, v12
	v_sub_u32_e32 v3, 0, v2
	v_max_i32_e32 v3, v2, v3
	v_mul_hi_u32 v11, v3, v5
	v_ashrrev_i32_e32 v13, 31, v2
	v_xor_b32_e32 v13, s70, v13
	v_mul_lo_u32 v12, v11, s67
	v_add_u32_e32 v14, 1, v11
	v_sub_u32_e32 v3, v3, v12
	v_cmp_le_u32_e32 vcc, s67, v3
	v_subrev_u32_e32 v12, s67, v3
	v_cndmask_b32_e32 v11, v11, v14, vcc
	v_cndmask_b32_e32 v3, v3, v12, vcc
	v_add_u32_e32 v12, 1, v11
	v_cmp_le_u32_e32 vcc, s67, v3
	v_cndmask_b32_e32 v3, v11, v12, vcc
	v_xor_b32_e32 v3, v3, v13
	v_sub_u32_e32 v3, v3, v13
	v_sub_u32_e32 v11, 0, v3
	v_max_i32_e32 v11, v3, v11
	v_mul_hi_u32 v12, v11, v6
	v_ashrrev_i32_e32 v15, 31, v3
	v_xor_b32_e32 v15, s72, v15
	v_mul_lo_u32 v13, v2, s34
	v_mul_lo_u32 v14, v12, s69
	v_add_u32_e32 v16, 1, v12
	v_sub_u32_e32 v11, v11, v14
	v_cmp_le_u32_e32 vcc, s69, v11
	v_subrev_u32_e32 v14, s69, v11
	v_cndmask_b32_e32 v12, v12, v16, vcc
	v_cndmask_b32_e32 v11, v11, v14, vcc
	v_add_u32_e32 v14, 1, v12
	v_cmp_le_u32_e32 vcc, s69, v11
	v_cndmask_b32_e32 v11, v12, v14, vcc
	v_xor_b32_e32 v11, v11, v15
	v_sub_u32_e32 v14, v11, v15
	v_sub_u32_e32 v11, 0, v14
	v_max_i32_e32 v12, v14, v11
	v_mul_hi_u32 v15, v12, v7
	v_ashrrev_i32_e32 v18, 31, v14
	v_xor_b32_e32 v18, s20, v18
	v_sub_u32_e32 v11, v0, v13
	v_mul_lo_u32 v16, v15, s33
	v_mul_lo_u32 v13, v3, s23
	;; [unrolled: 1-line block ×3, first 2 shown]
	v_sub_u32_e32 v12, v12, v16
	v_add_u32_e32 v16, 1, v15
	v_cmp_le_u32_e32 vcc, s33, v12
	v_cndmask_b32_e32 v15, v15, v16, vcc
	v_subrev_u32_e32 v16, s33, v12
	v_cndmask_b32_e32 v12, v12, v16, vcc
	v_add_u32_e32 v16, 1, v15
	v_cmp_le_u32_e32 vcc, s33, v12
	v_cndmask_b32_e32 v12, v15, v16, vcc
	v_xor_b32_e32 v12, v12, v18
	v_sub_u32_e32 v16, v12, v18
	v_mul_lo_u32 v15, v16, s21
	v_sub_u32_e32 v12, v2, v13
	v_sub_u32_e32 v13, v3, v17
	s_and_b64 vcc, exec, s[0:1]
	v_sub_u32_e32 v15, v14, v15
	s_cbranch_vccnz .LBB21_18
; %bb.5:                                ;   in Loop: Header=BB21_4 Depth=1
	v_mul_lo_u32 v17, v15, s31
	v_mul_lo_u32 v22, s50, v16
	v_mov_b32_e32 v14, s55
	v_add_u32_e32 v18, s17, v11
	v_mul_lo_u32 v2, s64, v17
	v_ashrrev_i32_e32 v23, 31, v22
	v_lshlrev_b64 v[22:23], 2, v[22:23]
	v_add_u32_e32 v19, s16, v12
	v_ashrrev_i32_e32 v3, 31, v2
	v_lshlrev_b64 v[2:3], 2, v[2:3]
	v_add_u32_e32 v20, s15, v13
	v_add_co_u32_e32 v2, vcc, s54, v2
	v_addc_co_u32_e32 v3, vcc, v14, v3, vcc
	v_mov_b32_e32 v14, s43
	v_add_co_u32_e32 v22, vcc, s42, v22
	v_add_u32_e32 v21, s31, v17
	v_addc_co_u32_e32 v23, vcc, v14, v23, vcc
	v_mov_b32_e32 v14, 0
	s_mov_b64 s[58:59], 0
	s_branch .LBB21_7
.LBB21_6:                               ;   in Loop: Header=BB21_7 Depth=2
	v_add_u32_e32 v17, 1, v17
	v_cmp_ge_i32_e32 vcc, v17, v21
	s_or_b64 s[58:59], vcc, s[58:59]
	s_andn2_b64 exec, exec, s[58:59]
	s_cbranch_execz .LBB21_2
.LBB21_7:                               ;   Parent Loop BB21_4 Depth=1
                                        ; =>  This Loop Header: Depth=2
                                        ;       Child Loop BB21_10 Depth 3
                                        ;         Child Loop BB21_13 Depth 4
                                        ;           Child Loop BB21_16 Depth 5
	s_andn2_b64 vcc, exec, s[44:45]
	s_cbranch_vccnz .LBB21_6
; %bb.8:                                ;   in Loop: Header=BB21_7 Depth=2
	v_mul_lo_u32 v24, s51, v17
	s_mov_b32 s78, 0
	v_ashrrev_i32_e32 v25, 31, v24
	v_lshlrev_b64 v[24:25], 2, v[24:25]
	v_add_co_u32_e32 v24, vcc, v22, v24
	v_addc_co_u32_e32 v25, vcc, v23, v25, vcc
	s_branch .LBB21_10
.LBB21_9:                               ;   in Loop: Header=BB21_10 Depth=3
	s_add_i32 s78, s78, 1
	s_cmp_eq_u32 s78, s28
	s_cbranch_scc1 .LBB21_6
.LBB21_10:                              ;   Parent Loop BB21_4 Depth=1
                                        ;     Parent Loop BB21_7 Depth=2
                                        ; =>    This Loop Header: Depth=3
                                        ;         Child Loop BB21_13 Depth 4
                                        ;           Child Loop BB21_16 Depth 5
	s_andn2_b64 vcc, exec, s[46:47]
	s_cbranch_vccnz .LBB21_9
; %bb.11:                               ;   in Loop: Header=BB21_10 Depth=3
	s_mul_i32 s2, s18, s78
	v_subrev_u32_e32 v27, s2, v20
	v_sub_u32_e32 v28, 0, v27
	v_max_i32_e32 v28, v27, v28
	v_mul_hi_u32 v29, v28, v8
	v_ashrrev_i32_e32 v26, 31, v27
	v_xor_b32_e32 v26, s75, v26
	s_mov_b32 s79, 0
	v_mul_lo_u32 v30, v29, s71
	v_sub_u32_e32 v28, v28, v30
	v_cmp_le_u32_e32 vcc, s71, v28
	v_add_u32_e32 v30, 1, v29
	v_cndmask_b32_e32 v29, v29, v30, vcc
	v_subrev_u32_e32 v30, s71, v28
	v_cndmask_b32_e32 v28, v28, v30, vcc
	v_cmp_le_u32_e32 vcc, s71, v28
	v_add_u32_e32 v28, 1, v29
	v_cndmask_b32_e32 v28, v29, v28, vcc
	v_xor_b32_e32 v28, v28, v26
	v_sub_u32_e32 v28, v28, v26
	v_cmp_lt_i32_e64 s[2:3], -1, v28
	v_cmp_gt_i32_e64 s[4:5], s25, v28
	v_mul_lo_u32 v26, v28, s26
	v_mul_lo_u32 v28, v28, s12
	v_cmp_eq_u32_e64 s[6:7], v28, v27
	s_branch .LBB21_13
.LBB21_12:                              ;   in Loop: Header=BB21_13 Depth=4
	s_add_i32 s79, s79, 1
	s_cmp_eq_u32 s79, s29
	s_cbranch_scc1 .LBB21_9
.LBB21_13:                              ;   Parent Loop BB21_4 Depth=1
                                        ;     Parent Loop BB21_7 Depth=2
                                        ;       Parent Loop BB21_10 Depth=3
                                        ; =>      This Loop Header: Depth=4
                                        ;           Child Loop BB21_16 Depth 5
	s_andn2_b64 vcc, exec, s[48:49]
	s_cbranch_vccnz .LBB21_12
; %bb.14:                               ;   in Loop: Header=BB21_13 Depth=4
	s_mul_i32 s8, s19, s79
	v_subrev_u32_e32 v28, s8, v19
	v_sub_u32_e32 v27, 0, v28
	v_max_i32_e32 v27, v28, v27
	v_mul_hi_u32 v29, v27, v9
	v_ashrrev_i32_e32 v31, 31, v28
	v_xor_b32_e32 v31, s76, v31
	s_mov_b32 s80, s30
	v_mul_lo_u32 v30, v29, s73
	v_add_u32_e32 v32, 1, v29
	v_sub_u32_e32 v27, v27, v30
	v_cmp_le_u32_e32 vcc, s73, v27
	v_subrev_u32_e32 v30, s73, v27
	v_cndmask_b32_e32 v29, v29, v32, vcc
	v_cndmask_b32_e32 v27, v27, v30, vcc
	v_add_u32_e32 v30, 1, v29
	v_cmp_le_u32_e32 vcc, s73, v27
	v_cndmask_b32_e32 v27, v29, v30, vcc
	v_xor_b32_e32 v27, v27, v31
	v_sub_u32_e32 v27, v27, v31
	v_mul_lo_u32 v29, v27, s13
	v_cmp_lt_i32_e32 vcc, -1, v27
	v_cmp_gt_i32_e64 s[8:9], s26, v27
	v_add_u32_e32 v27, v27, v26
	v_mul_lo_u32 v27, v27, s27
	v_cmp_eq_u32_e64 s[10:11], v29, v28
	s_and_b64 s[60:61], s[6:7], s[10:11]
	v_mov_b32_e32 v28, v18
	s_branch .LBB21_16
.LBB21_15:                              ;   in Loop: Header=BB21_16 Depth=5
	s_or_b64 exec, exec, s[62:63]
	v_mul_lo_u32 v30, v30, s14
	v_add_co_u32_e64 v2, s[10:11], 4, v2
	v_addc_co_u32_e64 v3, s[10:11], 0, v3, s[10:11]
	v_cmp_eq_u32_e64 s[10:11], v28, v30
	s_waitcnt vmcnt(0)
	v_fma_f32 v29, v29, v31, v14
	s_and_b64 s[10:11], s[60:61], s[10:11]
	s_add_i32 s80, s80, -1
	v_cndmask_b32_e64 v14, v14, v29, s[10:11]
	s_cmp_eq_u32 s80, 0
	v_subrev_u32_e32 v28, s24, v28
	s_cbranch_scc1 .LBB21_12
.LBB21_16:                              ;   Parent Loop BB21_4 Depth=1
                                        ;     Parent Loop BB21_7 Depth=2
                                        ;       Parent Loop BB21_10 Depth=3
                                        ;         Parent Loop BB21_13 Depth=4
                                        ; =>        This Inner Loop Header: Depth=5
	global_load_dword v29, v[2:3], off
	v_sub_u32_e32 v30, 0, v28
	v_max_i32_e32 v30, v28, v30
	v_mul_hi_u32 v31, v30, v10
	v_ashrrev_i32_e32 v33, 31, v28
	v_xor_b32_e32 v33, s77, v33
	v_mul_lo_u32 v32, v31, s74
	v_sub_u32_e32 v30, v30, v32
	v_add_u32_e32 v32, 1, v31
	v_cmp_le_u32_e64 s[10:11], s74, v30
	v_cndmask_b32_e64 v31, v31, v32, s[10:11]
	v_subrev_u32_e32 v32, s74, v30
	v_cndmask_b32_e64 v30, v30, v32, s[10:11]
	v_add_u32_e32 v32, 1, v31
	v_cmp_le_u32_e64 s[10:11], s74, v30
	v_cndmask_b32_e64 v30, v31, v32, s[10:11]
	v_xor_b32_e32 v30, v30, v33
	v_sub_u32_e32 v30, v30, v33
	v_cmp_lt_i32_e64 s[10:11], -1, v30
	s_and_b64 s[10:11], s[10:11], vcc
	s_and_b64 s[62:63], s[10:11], s[2:3]
	v_cmp_gt_i32_e64 s[10:11], s27, v30
	s_and_b64 s[10:11], s[10:11], s[62:63]
	s_and_b64 s[10:11], s[10:11], s[8:9]
	;; [unrolled: 1-line block ×3, first 2 shown]
	v_mov_b32_e32 v31, 0
	s_and_saveexec_b64 s[62:63], s[10:11]
	s_cbranch_execz .LBB21_15
; %bb.17:                               ;   in Loop: Header=BB21_16 Depth=5
	v_add_u32_e32 v31, v30, v27
	v_ashrrev_i32_e32 v32, 31, v31
	v_lshlrev_b64 v[31:32], 2, v[31:32]
	v_add_co_u32_e64 v31, s[10:11], v24, v31
	v_addc_co_u32_e64 v32, s[10:11], v25, v32, s[10:11]
	global_load_dword v31, v[31:32], off
	s_branch .LBB21_15
.LBB21_18:                              ;   in Loop: Header=BB21_4 Depth=1
	v_mov_b32_e32 v14, 0
	s_branch .LBB21_3
.LBB21_19:
	s_endpgm
	.section	.rodata,"a",@progbits
	.p2align	6, 0x0
	.amdhsa_kernel _ZN2at6native12_GLOBAL__N_143conv_depthwise3d_cuda_backward_input_kernelIffLin1ELin1ELin1ELin1ELin1ELin1ELin1ELin1ELin1EEEvN5torch10headeronly6detail27GenericPackedTensorAccessorINS5_14TensorAccessorIN3c108ArrayRefIlEEKT_Lm4ENS4_16DefaultPtrTraitsEiEENS_6detail16IndexBoundsCheckILm5EiEESC_Lm5ESD_iEENS6_INS7_ISA_SB_Lm4ESD_iEESH_SB_Lm5ESD_iEESI_iiiiiiiii
		.amdhsa_group_segment_fixed_size 0
		.amdhsa_private_segment_fixed_size 0
		.amdhsa_kernarg_size 440
		.amdhsa_user_sgpr_count 6
		.amdhsa_user_sgpr_private_segment_buffer 1
		.amdhsa_user_sgpr_dispatch_ptr 0
		.amdhsa_user_sgpr_queue_ptr 0
		.amdhsa_user_sgpr_kernarg_segment_ptr 1
		.amdhsa_user_sgpr_dispatch_id 0
		.amdhsa_user_sgpr_flat_scratch_init 0
		.amdhsa_user_sgpr_private_segment_size 0
		.amdhsa_uses_dynamic_stack 0
		.amdhsa_system_sgpr_private_segment_wavefront_offset 0
		.amdhsa_system_sgpr_workgroup_id_x 1
		.amdhsa_system_sgpr_workgroup_id_y 0
		.amdhsa_system_sgpr_workgroup_id_z 0
		.amdhsa_system_sgpr_workgroup_info 0
		.amdhsa_system_vgpr_workitem_id 0
		.amdhsa_next_free_vgpr 34
		.amdhsa_next_free_sgpr 81
		.amdhsa_reserve_vcc 1
		.amdhsa_reserve_flat_scratch 0
		.amdhsa_float_round_mode_32 0
		.amdhsa_float_round_mode_16_64 0
		.amdhsa_float_denorm_mode_32 3
		.amdhsa_float_denorm_mode_16_64 3
		.amdhsa_dx10_clamp 1
		.amdhsa_ieee_mode 1
		.amdhsa_fp16_overflow 0
		.amdhsa_exception_fp_ieee_invalid_op 0
		.amdhsa_exception_fp_denorm_src 0
		.amdhsa_exception_fp_ieee_div_zero 0
		.amdhsa_exception_fp_ieee_overflow 0
		.amdhsa_exception_fp_ieee_underflow 0
		.amdhsa_exception_fp_ieee_inexact 0
		.amdhsa_exception_int_div_zero 0
	.end_amdhsa_kernel
	.section	.text._ZN2at6native12_GLOBAL__N_143conv_depthwise3d_cuda_backward_input_kernelIffLin1ELin1ELin1ELin1ELin1ELin1ELin1ELin1ELin1EEEvN5torch10headeronly6detail27GenericPackedTensorAccessorINS5_14TensorAccessorIN3c108ArrayRefIlEEKT_Lm4ENS4_16DefaultPtrTraitsEiEENS_6detail16IndexBoundsCheckILm5EiEESC_Lm5ESD_iEENS6_INS7_ISA_SB_Lm4ESD_iEESH_SB_Lm5ESD_iEESI_iiiiiiiii,"axG",@progbits,_ZN2at6native12_GLOBAL__N_143conv_depthwise3d_cuda_backward_input_kernelIffLin1ELin1ELin1ELin1ELin1ELin1ELin1ELin1ELin1EEEvN5torch10headeronly6detail27GenericPackedTensorAccessorINS5_14TensorAccessorIN3c108ArrayRefIlEEKT_Lm4ENS4_16DefaultPtrTraitsEiEENS_6detail16IndexBoundsCheckILm5EiEESC_Lm5ESD_iEENS6_INS7_ISA_SB_Lm4ESD_iEESH_SB_Lm5ESD_iEESI_iiiiiiiii,comdat
.Lfunc_end21:
	.size	_ZN2at6native12_GLOBAL__N_143conv_depthwise3d_cuda_backward_input_kernelIffLin1ELin1ELin1ELin1ELin1ELin1ELin1ELin1ELin1EEEvN5torch10headeronly6detail27GenericPackedTensorAccessorINS5_14TensorAccessorIN3c108ArrayRefIlEEKT_Lm4ENS4_16DefaultPtrTraitsEiEENS_6detail16IndexBoundsCheckILm5EiEESC_Lm5ESD_iEENS6_INS7_ISA_SB_Lm4ESD_iEESH_SB_Lm5ESD_iEESI_iiiiiiiii, .Lfunc_end21-_ZN2at6native12_GLOBAL__N_143conv_depthwise3d_cuda_backward_input_kernelIffLin1ELin1ELin1ELin1ELin1ELin1ELin1ELin1ELin1EEEvN5torch10headeronly6detail27GenericPackedTensorAccessorINS5_14TensorAccessorIN3c108ArrayRefIlEEKT_Lm4ENS4_16DefaultPtrTraitsEiEENS_6detail16IndexBoundsCheckILm5EiEESC_Lm5ESD_iEENS6_INS7_ISA_SB_Lm4ESD_iEESH_SB_Lm5ESD_iEESI_iiiiiiiii
                                        ; -- End function
	.set _ZN2at6native12_GLOBAL__N_143conv_depthwise3d_cuda_backward_input_kernelIffLin1ELin1ELin1ELin1ELin1ELin1ELin1ELin1ELin1EEEvN5torch10headeronly6detail27GenericPackedTensorAccessorINS5_14TensorAccessorIN3c108ArrayRefIlEEKT_Lm4ENS4_16DefaultPtrTraitsEiEENS_6detail16IndexBoundsCheckILm5EiEESC_Lm5ESD_iEENS6_INS7_ISA_SB_Lm4ESD_iEESH_SB_Lm5ESD_iEESI_iiiiiiiii.num_vgpr, 34
	.set _ZN2at6native12_GLOBAL__N_143conv_depthwise3d_cuda_backward_input_kernelIffLin1ELin1ELin1ELin1ELin1ELin1ELin1ELin1ELin1EEEvN5torch10headeronly6detail27GenericPackedTensorAccessorINS5_14TensorAccessorIN3c108ArrayRefIlEEKT_Lm4ENS4_16DefaultPtrTraitsEiEENS_6detail16IndexBoundsCheckILm5EiEESC_Lm5ESD_iEENS6_INS7_ISA_SB_Lm4ESD_iEESH_SB_Lm5ESD_iEESI_iiiiiiiii.num_agpr, 0
	.set _ZN2at6native12_GLOBAL__N_143conv_depthwise3d_cuda_backward_input_kernelIffLin1ELin1ELin1ELin1ELin1ELin1ELin1ELin1ELin1EEEvN5torch10headeronly6detail27GenericPackedTensorAccessorINS5_14TensorAccessorIN3c108ArrayRefIlEEKT_Lm4ENS4_16DefaultPtrTraitsEiEENS_6detail16IndexBoundsCheckILm5EiEESC_Lm5ESD_iEENS6_INS7_ISA_SB_Lm4ESD_iEESH_SB_Lm5ESD_iEESI_iiiiiiiii.numbered_sgpr, 81
	.set _ZN2at6native12_GLOBAL__N_143conv_depthwise3d_cuda_backward_input_kernelIffLin1ELin1ELin1ELin1ELin1ELin1ELin1ELin1ELin1EEEvN5torch10headeronly6detail27GenericPackedTensorAccessorINS5_14TensorAccessorIN3c108ArrayRefIlEEKT_Lm4ENS4_16DefaultPtrTraitsEiEENS_6detail16IndexBoundsCheckILm5EiEESC_Lm5ESD_iEENS6_INS7_ISA_SB_Lm4ESD_iEESH_SB_Lm5ESD_iEESI_iiiiiiiii.num_named_barrier, 0
	.set _ZN2at6native12_GLOBAL__N_143conv_depthwise3d_cuda_backward_input_kernelIffLin1ELin1ELin1ELin1ELin1ELin1ELin1ELin1ELin1EEEvN5torch10headeronly6detail27GenericPackedTensorAccessorINS5_14TensorAccessorIN3c108ArrayRefIlEEKT_Lm4ENS4_16DefaultPtrTraitsEiEENS_6detail16IndexBoundsCheckILm5EiEESC_Lm5ESD_iEENS6_INS7_ISA_SB_Lm4ESD_iEESH_SB_Lm5ESD_iEESI_iiiiiiiii.private_seg_size, 0
	.set _ZN2at6native12_GLOBAL__N_143conv_depthwise3d_cuda_backward_input_kernelIffLin1ELin1ELin1ELin1ELin1ELin1ELin1ELin1ELin1EEEvN5torch10headeronly6detail27GenericPackedTensorAccessorINS5_14TensorAccessorIN3c108ArrayRefIlEEKT_Lm4ENS4_16DefaultPtrTraitsEiEENS_6detail16IndexBoundsCheckILm5EiEESC_Lm5ESD_iEENS6_INS7_ISA_SB_Lm4ESD_iEESH_SB_Lm5ESD_iEESI_iiiiiiiii.uses_vcc, 1
	.set _ZN2at6native12_GLOBAL__N_143conv_depthwise3d_cuda_backward_input_kernelIffLin1ELin1ELin1ELin1ELin1ELin1ELin1ELin1ELin1EEEvN5torch10headeronly6detail27GenericPackedTensorAccessorINS5_14TensorAccessorIN3c108ArrayRefIlEEKT_Lm4ENS4_16DefaultPtrTraitsEiEENS_6detail16IndexBoundsCheckILm5EiEESC_Lm5ESD_iEENS6_INS7_ISA_SB_Lm4ESD_iEESH_SB_Lm5ESD_iEESI_iiiiiiiii.uses_flat_scratch, 0
	.set _ZN2at6native12_GLOBAL__N_143conv_depthwise3d_cuda_backward_input_kernelIffLin1ELin1ELin1ELin1ELin1ELin1ELin1ELin1ELin1EEEvN5torch10headeronly6detail27GenericPackedTensorAccessorINS5_14TensorAccessorIN3c108ArrayRefIlEEKT_Lm4ENS4_16DefaultPtrTraitsEiEENS_6detail16IndexBoundsCheckILm5EiEESC_Lm5ESD_iEENS6_INS7_ISA_SB_Lm4ESD_iEESH_SB_Lm5ESD_iEESI_iiiiiiiii.has_dyn_sized_stack, 0
	.set _ZN2at6native12_GLOBAL__N_143conv_depthwise3d_cuda_backward_input_kernelIffLin1ELin1ELin1ELin1ELin1ELin1ELin1ELin1ELin1EEEvN5torch10headeronly6detail27GenericPackedTensorAccessorINS5_14TensorAccessorIN3c108ArrayRefIlEEKT_Lm4ENS4_16DefaultPtrTraitsEiEENS_6detail16IndexBoundsCheckILm5EiEESC_Lm5ESD_iEENS6_INS7_ISA_SB_Lm4ESD_iEESH_SB_Lm5ESD_iEESI_iiiiiiiii.has_recursion, 0
	.set _ZN2at6native12_GLOBAL__N_143conv_depthwise3d_cuda_backward_input_kernelIffLin1ELin1ELin1ELin1ELin1ELin1ELin1ELin1ELin1EEEvN5torch10headeronly6detail27GenericPackedTensorAccessorINS5_14TensorAccessorIN3c108ArrayRefIlEEKT_Lm4ENS4_16DefaultPtrTraitsEiEENS_6detail16IndexBoundsCheckILm5EiEESC_Lm5ESD_iEENS6_INS7_ISA_SB_Lm4ESD_iEESH_SB_Lm5ESD_iEESI_iiiiiiiii.has_indirect_call, 0
	.section	.AMDGPU.csdata,"",@progbits
; Kernel info:
; codeLenInByte = 1996
; TotalNumSgprs: 85
; NumVgprs: 34
; ScratchSize: 0
; MemoryBound: 0
; FloatMode: 240
; IeeeMode: 1
; LDSByteSize: 0 bytes/workgroup (compile time only)
; SGPRBlocks: 10
; VGPRBlocks: 8
; NumSGPRsForWavesPerEU: 85
; NumVGPRsForWavesPerEU: 34
; Occupancy: 7
; WaveLimiterHint : 0
; COMPUTE_PGM_RSRC2:SCRATCH_EN: 0
; COMPUTE_PGM_RSRC2:USER_SGPR: 6
; COMPUTE_PGM_RSRC2:TRAP_HANDLER: 0
; COMPUTE_PGM_RSRC2:TGID_X_EN: 1
; COMPUTE_PGM_RSRC2:TGID_Y_EN: 0
; COMPUTE_PGM_RSRC2:TGID_Z_EN: 0
; COMPUTE_PGM_RSRC2:TIDIG_COMP_CNT: 0
	.section	.text._ZN2at6native12_GLOBAL__N_143conv_depthwise3d_cuda_backward_input_kernelIN3c104HalfEfLi3ELi3ELi3ELi1ELi1ELi1ELi1ELi1ELi1EEEvN5torch10headeronly6detail27GenericPackedTensorAccessorINS7_14TensorAccessorINS3_8ArrayRefIlEEKT_Lm4ENS6_16DefaultPtrTraitsEiEENS_6detail16IndexBoundsCheckILm5EiEESD_Lm5ESE_iEENS8_INS9_ISB_SC_Lm4ESE_iEESI_SC_Lm5ESE_iEESJ_iiiiiiiii,"axG",@progbits,_ZN2at6native12_GLOBAL__N_143conv_depthwise3d_cuda_backward_input_kernelIN3c104HalfEfLi3ELi3ELi3ELi1ELi1ELi1ELi1ELi1ELi1EEEvN5torch10headeronly6detail27GenericPackedTensorAccessorINS7_14TensorAccessorINS3_8ArrayRefIlEEKT_Lm4ENS6_16DefaultPtrTraitsEiEENS_6detail16IndexBoundsCheckILm5EiEESD_Lm5ESE_iEENS8_INS9_ISB_SC_Lm4ESE_iEESI_SC_Lm5ESE_iEESJ_iiiiiiiii,comdat
	.globl	_ZN2at6native12_GLOBAL__N_143conv_depthwise3d_cuda_backward_input_kernelIN3c104HalfEfLi3ELi3ELi3ELi1ELi1ELi1ELi1ELi1ELi1EEEvN5torch10headeronly6detail27GenericPackedTensorAccessorINS7_14TensorAccessorINS3_8ArrayRefIlEEKT_Lm4ENS6_16DefaultPtrTraitsEiEENS_6detail16IndexBoundsCheckILm5EiEESD_Lm5ESE_iEENS8_INS9_ISB_SC_Lm4ESE_iEESI_SC_Lm5ESE_iEESJ_iiiiiiiii ; -- Begin function _ZN2at6native12_GLOBAL__N_143conv_depthwise3d_cuda_backward_input_kernelIN3c104HalfEfLi3ELi3ELi3ELi1ELi1ELi1ELi1ELi1ELi1EEEvN5torch10headeronly6detail27GenericPackedTensorAccessorINS7_14TensorAccessorINS3_8ArrayRefIlEEKT_Lm4ENS6_16DefaultPtrTraitsEiEENS_6detail16IndexBoundsCheckILm5EiEESD_Lm5ESE_iEENS8_INS9_ISB_SC_Lm4ESE_iEESI_SC_Lm5ESE_iEESJ_iiiiiiiii
	.p2align	8
	.type	_ZN2at6native12_GLOBAL__N_143conv_depthwise3d_cuda_backward_input_kernelIN3c104HalfEfLi3ELi3ELi3ELi1ELi1ELi1ELi1ELi1ELi1EEEvN5torch10headeronly6detail27GenericPackedTensorAccessorINS7_14TensorAccessorINS3_8ArrayRefIlEEKT_Lm4ENS6_16DefaultPtrTraitsEiEENS_6detail16IndexBoundsCheckILm5EiEESD_Lm5ESE_iEENS8_INS9_ISB_SC_Lm4ESE_iEESI_SC_Lm5ESE_iEESJ_iiiiiiiii,@function
_ZN2at6native12_GLOBAL__N_143conv_depthwise3d_cuda_backward_input_kernelIN3c104HalfEfLi3ELi3ELi3ELi1ELi1ELi1ELi1ELi1ELi1EEEvN5torch10headeronly6detail27GenericPackedTensorAccessorINS7_14TensorAccessorINS3_8ArrayRefIlEEKT_Lm4ENS6_16DefaultPtrTraitsEiEENS_6detail16IndexBoundsCheckILm5EiEESD_Lm5ESE_iEENS8_INS9_ISB_SC_Lm4ESE_iEESI_SC_Lm5ESE_iEESJ_iiiiiiiii: ; @_ZN2at6native12_GLOBAL__N_143conv_depthwise3d_cuda_backward_input_kernelIN3c104HalfEfLi3ELi3ELi3ELi1ELi1ELi1ELi1ELi1ELi1EEEvN5torch10headeronly6detail27GenericPackedTensorAccessorINS7_14TensorAccessorINS3_8ArrayRefIlEEKT_Lm4ENS6_16DefaultPtrTraitsEiEENS_6detail16IndexBoundsCheckILm5EiEESD_Lm5ESE_iEENS8_INS9_ISB_SC_Lm4ESE_iEESI_SC_Lm5ESE_iEESJ_iiiiiiiii
; %bb.0:
	s_load_dwordx4 s[36:39], s[4:5], 0x38
	s_load_dwordx2 s[34:35], s[4:5], 0x48
	s_mov_b64 s[98:99], s[2:3]
	s_mov_b64 s[96:97], s[0:1]
	s_add_u32 s96, s96, s7
	s_addc_u32 s97, s97, 0
	s_waitcnt lgkmcnt(0)
	s_abs_i32 s33, s37
	v_cvt_f32_u32_e32 v2, s33
	s_load_dword s2, s[4:5], 0xc4
	s_add_u32 s0, s4, 0xb8
	v_mov_b32_e32 v1, 0
	v_rcp_iflag_f32_e32 v2, v2
	v_mov_b32_e32 v3, s6
	s_addc_u32 s1, s5, 0
	s_waitcnt lgkmcnt(0)
	s_and_b32 s2, s2, 0xffff
	v_mul_f32_e32 v2, 0x4f7ffffe, v2
	v_mad_u64_u32 v[9:10], s[6:7], s2, v3, v[0:1]
	v_cvt_u32_f32_e32 v0, v2
	s_mul_i32 s6, s35, s36
	s_ashr_i32 s7, s6, 31
                                        ; implicit-def: $vgpr63 : SGPR spill to VGPR lane
	v_writelane_b32 v63, s6, 0
	v_cmp_gt_i64_e32 vcc, s[6:7], v[9:10]
	v_writelane_b32 v63, s7, 1
	v_readfirstlane_b32 s3, v0
	s_and_saveexec_b64 s[6:7], vcc
	s_cbranch_execz .LBB22_62
; %bb.1:
	s_load_dwordx4 s[40:43], s[4:5], 0xc
	s_load_dwordx2 s[6:7], s[4:5], 0x0
	s_sub_i32 s8, 0, s33
	s_mul_i32 s9, s8, s3
	s_mul_hi_u32 s9, s3, s9
	s_add_i32 s3, s3, s9
	s_waitcnt lgkmcnt(0)
	v_writelane_b32 v63, s6, 2
	v_writelane_b32 v63, s7, 3
	s_abs_i32 s7, s40
	s_mul_hi_u32 s3, s7, s3
	s_mul_i32 s9, s3, s33
	s_ashr_i32 s10, s37, 31
	s_ashr_i32 s6, s40, 31
	s_sub_i32 s7, s7, s9
	v_writelane_b32 v63, s10, 4
	s_xor_b32 s6, s6, s10
	s_add_i32 s9, s3, 1
	s_sub_i32 s10, s7, s33
	s_cmp_ge_u32 s7, s33
	s_cselect_b32 s3, s9, s3
	s_cselect_b32 s7, s10, s7
	s_add_i32 s9, s3, 1
	s_cmp_ge_u32 s7, s33
	s_cselect_b32 s3, s9, s3
	s_xor_b32 s3, s3, s6
	s_sub_i32 s40, s3, s6
	s_cmp_gt_i32 s40, 0
	s_cselect_b64 s[6:7], -1, 0
	s_abs_i32 s36, s34
	v_cvt_f32_u32_e32 v1, s36
	s_load_dword s0, s[0:1], 0x0
	s_nop 0
	s_load_dwordx4 s[44:47], s[4:5], 0x9c
	s_load_dword s1, s[4:5], 0x7c
	s_load_dwordx2 s[10:11], s[4:5], 0x60
	s_load_dwordx4 s[48:51], s[4:5], 0x50
	v_rcp_iflag_f32_e32 v1, v1
	s_waitcnt lgkmcnt(0)
	s_mul_i32 s0, s0, s2
	v_writelane_b32 v63, s1, 5
	v_writelane_b32 v63, s10, 6
	v_mul_f32_e32 v1, 0x4f7ffffe, v1
	v_cvt_u32_f32_e32 v1, v1
	v_writelane_b32 v63, s11, 7
	v_writelane_b32 v63, s0, 8
	s_sub_i32 s0, 0, s36
	v_mul_lo_u32 v2, s0, v1
	s_abs_i32 s47, s39
	v_cvt_f32_u32_e32 v3, s47
	s_abs_i32 s60, s38
	v_cvt_f32_u32_e32 v4, s60
	v_mul_hi_u32 v2, v1, v2
	v_rcp_iflag_f32_e32 v3, v3
	s_load_dwordx2 s[56:57], s[4:5], 0x1c
	s_load_dwordx2 s[58:59], s[4:5], 0x30
	v_rcp_iflag_f32_e32 v4, v4
	v_add_u32_e32 v1, v1, v2
	buffer_store_dword v1, off, s[96:99], 0 offset:256 ; 4-byte Folded Spill
	v_mul_f32_e32 v1, 0x4f7ffffe, v3
	v_cvt_u32_f32_e32 v1, v1
	v_mul_f32_e32 v2, 0x4f7ffffe, v4
	v_cvt_u32_f32_e32 v2, v2
	v_mul_lo_u32 v5, s8, v0
	s_ashr_i32 s0, s34, 31
	v_writelane_b32 v63, s0, 9
	s_sub_i32 s0, 0, s47
	v_mul_lo_u32 v3, s0, v1
	s_sub_i32 s0, 0, s60
	v_mul_lo_u32 v4, s0, v2
	v_mul_hi_u32 v5, v0, v5
	v_mul_hi_u32 v3, v1, v3
	s_ashr_i32 s0, s39, 31
	v_mul_hi_u32 v4, v2, v4
	v_add_u32_e32 v0, v0, v5
	buffer_store_dword v0, off, s[96:99], 0 offset:268 ; 4-byte Folded Spill
	v_cndmask_b32_e64 v0, 0, 1, s[6:7]
	v_writelane_b32 v63, s0, 10
	v_cmp_ne_u32_e64 s[0:1], 1, v0
	v_add_u32_e32 v1, v1, v3
	v_writelane_b32 v63, s0, 11
	buffer_store_dword v1, off, s[96:99], 0 offset:260 ; 4-byte Folded Spill
	s_ashr_i32 s61, s38, 31
	v_add_u32_e32 v1, v2, v4
	s_mov_b64 s[62:63], 0
	v_writelane_b32 v63, s1, 12
                                        ; kill: killed $sgpr4 killed $sgpr5
	buffer_store_dword v1, off, s[96:99], 0 offset:264 ; 4-byte Folded Spill
	s_branch .LBB22_4
.LBB22_2:                               ;   in Loop: Header=BB22_4 Depth=1
	s_or_b64 exec, exec, s[88:89]
	buffer_load_dword v9, off, s[96:99], 0 offset:228 ; 4-byte Folded Reload
	buffer_load_dword v10, off, s[96:99], 0 offset:232 ; 4-byte Folded Reload
	buffer_load_dword v11, off, s[96:99], 0 offset:236 ; 4-byte Folded Reload
	buffer_load_dword v8, off, s[96:99], 0 offset:240 ; 4-byte Folded Reload
	buffer_load_dword v7, off, s[96:99], 0 offset:244 ; 4-byte Folded Reload
	buffer_load_dword v23, off, s[96:99], 0 offset:248 ; 4-byte Folded Reload
	buffer_load_dword v57, off, s[96:99], 0 offset:252 ; 4-byte Folded Reload
	v_cvt_f16_f32_e32 v0, v1
.LBB22_3:                               ;   in Loop: Header=BB22_4 Depth=1
	s_waitcnt vmcnt(1)
	v_mul_lo_u32 v1, v23, s35
	s_waitcnt vmcnt(0)
	v_mul_lo_u32 v3, s48, v57
	s_waitcnt lgkmcnt(0)
	v_mov_b32_e32 v4, s59
	v_readlane_b32 s0, v63, 8
	v_ashrrev_i32_e32 v2, 31, v1
	v_lshlrev_b64 v[1:2], 1, v[1:2]
	v_add_co_u32_e32 v5, vcc, s58, v1
	v_addc_co_u32_e32 v6, vcc, v4, v2, vcc
	v_ashrrev_i32_e32 v4, 31, v3
	v_lshlrev_b64 v[1:2], 1, v[3:4]
	v_mul_lo_u32 v3, s49, v7
	v_add_co_u32_e32 v5, vcc, v5, v1
	v_addc_co_u32_e32 v6, vcc, v6, v2, vcc
	v_ashrrev_i32_e32 v4, 31, v3
	v_lshlrev_b64 v[1:2], 1, v[3:4]
	v_mul_lo_u32 v3, s50, v8
	;; [unrolled: 5-line block ×3, first 2 shown]
	v_add_co_u32_e32 v5, vcc, v5, v1
	v_addc_co_u32_e32 v6, vcc, v6, v2, vcc
	v_ashrrev_i32_e32 v4, 31, v3
	v_add_co_u32_e32 v9, vcc, s0, v9
	v_readlane_b32 s0, v63, 0
	v_lshlrev_b64 v[1:2], 1, v[3:4]
	v_addc_co_u32_e32 v10, vcc, 0, v10, vcc
	v_readlane_b32 s1, v63, 1
	v_cmp_le_i64_e32 vcc, s[0:1], v[9:10]
	v_add_co_u32_e64 v1, s[2:3], v5, v1
	v_addc_co_u32_e64 v2, s[2:3], v6, v2, s[2:3]
	s_or_b64 s[62:63], vcc, s[62:63]
	global_store_short v[1:2], v0, off
	s_andn2_b64 exec, exec, s[62:63]
	s_cbranch_execz .LBB22_62
.LBB22_4:                               ; =>This Loop Header: Depth=1
                                        ;     Child Loop BB22_7 Depth 2
	buffer_load_dword v1, off, s[96:99], 0 offset:256 ; 4-byte Folded Reload
	v_sub_u32_e32 v0, 0, v9
	v_max_i32_e32 v0, v9, v0
	v_ashrrev_i32_e32 v3, 31, v9
	v_readlane_b32 s0, v63, 9
	v_xor_b32_e32 v3, s0, v3
	v_readlane_b32 s0, v63, 10
	s_waitcnt vmcnt(0)
	v_mul_hi_u32 v1, v0, v1
	v_mul_lo_u32 v2, v1, s36
	v_add_u32_e32 v4, 1, v1
	v_sub_u32_e32 v0, v0, v2
	v_cmp_le_u32_e32 vcc, s36, v0
	v_subrev_u32_e32 v2, s36, v0
	v_cndmask_b32_e32 v1, v1, v4, vcc
	v_cndmask_b32_e32 v0, v0, v2, vcc
	v_add_u32_e32 v2, 1, v1
	v_cmp_le_u32_e32 vcc, s36, v0
	v_cndmask_b32_e32 v0, v1, v2, vcc
	buffer_load_dword v2, off, s[96:99], 0 offset:260 ; 4-byte Folded Reload
	v_xor_b32_e32 v0, v0, v3
	v_sub_u32_e32 v0, v0, v3
	v_sub_u32_e32 v1, 0, v0
	v_max_i32_e32 v1, v0, v1
	v_ashrrev_i32_e32 v4, 31, v0
	v_xor_b32_e32 v4, s0, v4
	v_readlane_b32 s0, v63, 4
	s_waitcnt vmcnt(0)
	v_mul_hi_u32 v2, v1, v2
	v_mul_lo_u32 v3, v2, s47
	v_add_u32_e32 v5, 1, v2
	v_sub_u32_e32 v1, v1, v3
	v_cmp_le_u32_e32 vcc, s47, v1
	v_subrev_u32_e32 v3, s47, v1
	v_cndmask_b32_e32 v2, v2, v5, vcc
	v_cndmask_b32_e32 v1, v1, v3, vcc
	v_add_u32_e32 v3, 1, v2
	v_cmp_le_u32_e32 vcc, s47, v1
	v_cndmask_b32_e32 v1, v2, v3, vcc
	buffer_load_dword v3, off, s[96:99], 0 offset:264 ; 4-byte Folded Reload
	v_xor_b32_e32 v1, v1, v4
	v_sub_u32_e32 v1, v1, v4
	v_sub_u32_e32 v2, 0, v1
	v_max_i32_e32 v2, v1, v2
	v_ashrrev_i32_e32 v6, 31, v1
	v_xor_b32_e32 v6, s61, v6
	v_mul_lo_u32 v4, v0, s34
	v_sub_u32_e32 v11, v9, v4
	v_mul_lo_u32 v4, v1, s39
	s_waitcnt vmcnt(0)
	v_mul_hi_u32 v3, v2, v3
	v_mul_lo_u32 v5, v3, s60
	v_add_u32_e32 v7, 1, v3
	v_sub_u32_e32 v2, v2, v5
	v_cmp_le_u32_e32 vcc, s60, v2
	v_subrev_u32_e32 v5, s60, v2
	v_cndmask_b32_e32 v3, v3, v7, vcc
	v_cndmask_b32_e32 v2, v2, v5, vcc
	v_add_u32_e32 v5, 1, v3
	v_cmp_le_u32_e32 vcc, s60, v2
	v_cndmask_b32_e32 v2, v3, v5, vcc
	buffer_load_dword v5, off, s[96:99], 0 offset:268 ; 4-byte Folded Reload
	v_xor_b32_e32 v2, v2, v6
	v_sub_u32_e32 v2, v2, v6
	v_sub_u32_e32 v3, 0, v2
	v_max_i32_e32 v3, v2, v3
	v_ashrrev_i32_e32 v8, 31, v2
	v_xor_b32_e32 v8, s0, v8
	v_mul_lo_u32 v7, v2, s38
	v_readlane_b32 s0, v63, 11
	v_readlane_b32 s1, v63, 12
	v_sub_u32_e32 v7, v1, v7
	s_waitcnt vmcnt(0)
	v_mul_hi_u32 v5, v3, v5
	v_mul_lo_u32 v6, v5, s33
	v_sub_u32_e32 v3, v3, v6
	v_add_u32_e32 v6, 1, v5
	v_cmp_le_u32_e32 vcc, s33, v3
	v_cndmask_b32_e32 v5, v5, v6, vcc
	v_subrev_u32_e32 v6, s33, v3
	v_cndmask_b32_e32 v3, v3, v6, vcc
	v_add_u32_e32 v6, 1, v5
	v_cmp_le_u32_e32 vcc, s33, v3
	v_cndmask_b32_e32 v3, v5, v6, vcc
	v_xor_b32_e32 v3, v3, v8
	v_sub_u32_e32 v23, v3, v8
	v_mul_lo_u32 v3, v23, s37
	v_sub_u32_e32 v8, v0, v4
	s_and_b64 vcc, exec, s[0:1]
	v_sub_u32_e32 v57, v2, v3
	s_cbranch_vccnz .LBB22_61
; %bb.5:                                ;   in Loop: Header=BB22_4 Depth=1
	v_add_u32_e32 v5, s45, v8
	v_add_u32_e32 v0, s46, v11
	buffer_store_dword v9, off, s[96:99], 0 offset:228 ; 4-byte Folded Spill
	s_nop 0
	buffer_store_dword v10, off, s[96:99], 0 offset:232 ; 4-byte Folded Spill
	buffer_store_dword v7, off, s[96:99], 0 offset:244 ; 4-byte Folded Spill
	v_add_u32_e32 v6, s44, v7
	buffer_store_dword v11, off, s[96:99], 0 offset:236 ; 4-byte Folded Spill
	v_or_b32_e32 v11, v0, v5
	v_or_b32_e32 v1, v11, v6
	v_cmp_lt_i32_e32 vcc, -1, v1
	v_add_u32_e32 v1, -1, v0
	v_or_b32_e32 v13, v1, v5
	v_add_u32_e32 v14, -2, v0
	v_add_u32_e32 v9, -1, v5
	v_or_b32_e32 v2, v13, v6
	v_or_b32_e32 v16, v14, v5
	;; [unrolled: 1-line block ×3, first 2 shown]
	v_cmp_lt_i32_e64 s[2:3], -1, v2
	v_or_b32_e32 v2, v16, v6
	v_or_b32_e32 v12, v1, v9
	v_cmp_lt_i32_e64 s[4:5], -1, v2
	v_or_b32_e32 v2, v10, v6
	v_add_u32_e32 v7, -2, v5
	v_or_b32_e32 v15, v14, v9
	v_cmp_lt_i32_e64 s[6:7], -1, v2
	v_or_b32_e32 v2, v12, v6
	v_cmp_gt_i32_e64 s[24:25], s42, v5
	v_cmp_gt_i32_e64 s[26:27], s43, v0
	;; [unrolled: 1-line block ×4, first 2 shown]
	buffer_store_dword v8, off, s[96:99], 0 offset:240 ; 4-byte Folded Spill
	v_or_b32_e32 v8, v0, v7
	v_cmp_lt_i32_e64 s[8:9], -1, v2
	v_or_b32_e32 v2, v15, v6
	s_and_b64 s[86:87], s[26:27], s[24:25]
	s_and_b64 s[84:85], s[28:29], s[24:25]
	;; [unrolled: 1-line block ×3, first 2 shown]
	v_cmp_gt_i32_e64 s[24:25], s42, v9
	v_cmp_lt_i32_e64 s[10:11], -1, v2
	v_or_b32_e32 v2, v8, v6
	v_or_b32_e32 v17, v1, v7
	s_and_b64 s[52:53], s[26:27], s[24:25]
	s_and_b64 s[0:1], s[28:29], s[24:25]
	;; [unrolled: 1-line block ×3, first 2 shown]
	v_cmp_gt_i32_e64 s[24:25], s42, v7
	v_cmp_lt_i32_e64 s[12:13], -1, v2
	v_or_b32_e32 v2, v17, v6
	v_or_b32_e32 v18, v14, v7
	s_and_b64 s[92:93], s[26:27], s[24:25]
	s_and_b64 s[90:91], s[28:29], s[24:25]
	;; [unrolled: 1-line block ×3, first 2 shown]
	v_cmp_gt_i32_e64 s[24:25], s41, v6
	s_and_b64 s[2:3], s[84:85], s[2:3]
	v_cmp_lt_i32_e64 s[14:15], -1, v2
	v_or_b32_e32 v2, v18, v6
	s_and_b64 s[28:29], s[2:3], s[24:25]
	s_and_b64 s[2:3], s[54:55], s[4:5]
	v_cmp_lt_i32_e64 s[16:17], -1, v2
	v_add_u32_e32 v2, -1, v6
	s_and_b64 s[30:31], s[2:3], s[24:25]
	s_and_b64 s[2:3], s[52:53], s[6:7]
	v_or_b32_e32 v3, v11, v2
	s_and_b64 s[64:65], s[2:3], s[24:25]
	s_and_b64 s[2:3], s[0:1], s[8:9]
	v_cmp_lt_i32_e64 s[18:19], -1, v3
	v_or_b32_e32 v3, v13, v2
	s_and_b64 s[66:67], s[2:3], s[24:25]
	s_and_b64 s[2:3], s[94:95], s[10:11]
	v_cmp_lt_i32_e64 s[20:21], -1, v3
	;; [unrolled: 4-line block ×3, first 2 shown]
	s_and_b64 s[70:71], s[2:3], s[24:25]
	s_and_b64 s[2:3], s[90:91], s[14:15]
	v_or_b32_e32 v3, v10, v2
	v_cmp_gt_i32_e64 s[4:5], s41, v2
	s_and_b64 s[6:7], s[86:87], s[18:19]
	s_and_b64 s[26:27], s[86:87], vcc
	s_and_b64 s[72:73], s[2:3], s[24:25]
	s_and_b64 s[2:3], s[88:89], s[16:17]
	v_cmp_lt_i32_e32 vcc, -1, v3
	v_or_b32_e32 v3, v12, v2
	s_and_b64 s[18:19], s[6:7], s[4:5]
	s_and_b64 s[6:7], s[84:85], s[20:21]
	;; [unrolled: 1-line block ×3, first 2 shown]
	v_or_b32_e32 v4, v15, v2
	v_cmp_lt_i32_e64 s[2:3], -1, v3
	s_and_b64 s[20:21], s[6:7], s[4:5]
	s_and_b64 s[6:7], s[54:55], s[22:23]
	v_or_b32_e32 v3, v8, v2
	s_and_b64 s[22:23], s[6:7], s[4:5]
	s_and_b64 s[6:7], s[52:53], vcc
	s_and_b64 s[2:3], s[0:1], s[2:3]
	v_cmp_lt_i32_e32 vcc, -1, v4
	v_or_b32_e32 v19, v17, v2
	s_and_b64 s[74:75], s[2:3], s[4:5]
	s_and_b64 s[2:3], s[94:95], vcc
	v_cmp_lt_i32_e32 vcc, -1, v3
	v_mul_lo_u32 v21, v6, s42
	v_or_b32_e32 v2, v18, v2
	s_and_b64 s[76:77], s[2:3], s[4:5]
	s_and_b64 s[2:3], s[92:93], vcc
	v_cmp_lt_i32_e32 vcc, -1, v19
	v_mul_lo_u32 v60, v57, s40
	s_and_b64 s[78:79], s[2:3], s[4:5]
	s_and_b64 s[2:3], s[90:91], vcc
	v_cmp_lt_i32_e32 vcc, -1, v2
	s_and_b64 s[80:81], s[2:3], s[4:5]
	s_and_b64 s[2:3], s[88:89], vcc
	s_and_b64 s[82:83], s[2:3], s[4:5]
	v_add_u32_e32 v2, v5, v21
	v_readlane_b32 s2, v63, 5
	v_mul_lo_u32 v22, v2, s43
	v_mul_lo_u32 v2, s2, v60
	s_waitcnt lgkmcnt(0)
	v_mul_lo_u32 v19, s56, v23
	s_and_b64 s[26:27], s[26:27], s[24:25]
	s_and_b64 s[24:25], s[6:7], s[4:5]
	v_ashrrev_i32_e32 v3, 31, v2
	v_readlane_b32 s4, v63, 6
	v_lshlrev_b64 v[2:3], 1, v[2:3]
	v_readlane_b32 s5, v63, 7
	v_mov_b32_e32 v20, s5
	v_add_co_u32_e32 v2, vcc, s4, v2
	v_addc_co_u32_e32 v3, vcc, v20, v3, vcc
	v_ashrrev_i32_e32 v20, 31, v19
	v_readlane_b32 s2, v63, 2
	v_lshlrev_b64 v[19:20], 1, v[19:20]
	v_readlane_b32 s3, v63, 3
	buffer_store_dword v23, off, s[96:99], 0 offset:248 ; 4-byte Folded Spill
	v_mov_b32_e32 v23, s3
	v_add_co_u32_e32 v62, vcc, s2, v19
	v_addc_co_u32_e32 v19, vcc, v23, v20, vcc
	v_add_u32_e32 v23, -2, v6
	v_or_b32_e32 v25, v11, v23
	v_add_u32_e32 v24, v9, v21
	buffer_store_dword v19, off, s[96:99], 0 offset:4 ; 4-byte Folded Spill
	v_or_b32_e32 v19, v15, v23
	v_or_b32_e32 v11, v8, v23
	v_add_u32_e32 v8, v7, v21
	v_cmp_lt_i32_e64 s[10:11], -1, v25
	v_subrev_u32_e32 v21, s42, v21
	v_add_u32_e32 v4, v0, v22
	v_or_b32_e32 v26, v13, v23
	v_or_b32_e32 v27, v16, v23
	v_mul_lo_u32 v13, v24, s43
	v_or_b32_e32 v24, v10, v23
	s_and_b64 s[14:15], s[86:87], s[10:11]
	v_cmp_lt_i32_e64 s[10:11], -1, v19
	v_subrev_u32_e32 v19, s42, v21
	v_or_b32_e32 v20, v17, v23
	v_mul_lo_u32 v17, v8, s43
	v_add_u32_e32 v8, v5, v21
	v_cmp_lt_i32_e64 s[2:3], -1, v27
	v_cmp_lt_i32_e64 s[4:5], -1, v24
	v_add_u32_e32 v24, v9, v21
	v_add_u32_e32 v27, v7, v21
	;; [unrolled: 1-line block ×3, first 2 shown]
	v_ashrrev_i32_e32 v5, 31, v4
	v_lshlrev_b64 v[4:5], 1, v[4:5]
	v_add_u32_e32 v6, v1, v22
	v_add_u32_e32 v52, v7, v19
	v_ashrrev_i32_e32 v7, 31, v6
	buffer_store_dword v4, off, s[96:99], 0 offset:12 ; 4-byte Folded Spill
	s_nop 0
	buffer_store_dword v5, off, s[96:99], 0 offset:16 ; 4-byte Folded Spill
	v_lshlrev_b64 v[4:5], 1, v[6:7]
	v_or_b32_e32 v28, v12, v23
	v_or_b32_e32 v15, v18, v23
	v_cmp_gt_i32_e32 vcc, s41, v23
	v_mul_lo_u32 v23, v8, s43
	v_add_u32_e32 v8, v14, v22
	v_add_u32_e32 v46, v9, v19
	v_ashrrev_i32_e32 v9, 31, v8
	buffer_store_dword v4, off, s[96:99], 0 offset:20 ; 4-byte Folded Spill
	s_nop 0
	buffer_store_dword v5, off, s[96:99], 0 offset:24 ; 4-byte Folded Spill
	v_lshlrev_b64 v[4:5], 1, v[8:9]
	v_add_u32_e32 v10, v0, v13
	v_cmp_lt_i32_e64 s[8:9], -1, v26
	s_and_b64 s[86:87], s[84:85], s[8:9]
	v_cmp_lt_i32_e64 s[8:9], -1, v11
	v_ashrrev_i32_e32 v11, 31, v10
	buffer_store_dword v4, off, s[96:99], 0 offset:28 ; 4-byte Folded Spill
	s_nop 0
	buffer_store_dword v5, off, s[96:99], 0 offset:32 ; 4-byte Folded Spill
	v_lshlrev_b64 v[4:5], 1, v[10:11]
	v_add_u32_e32 v12, v1, v13
	v_add_u32_e32 v26, v14, v13
	v_ashrrev_i32_e32 v13, 31, v12
	buffer_store_dword v4, off, s[96:99], 0 offset:36 ; 4-byte Folded Spill
	s_nop 0
	buffer_store_dword v5, off, s[96:99], 0 offset:40 ; 4-byte Folded Spill
	v_lshlrev_b64 v[4:5], 1, v[12:13]
	v_mul_lo_u32 v42, v27, s43
	v_ashrrev_i32_e32 v27, 31, v26
	buffer_store_dword v4, off, s[96:99], 0 offset:44 ; 4-byte Folded Spill
	s_nop 0
	buffer_store_dword v5, off, s[96:99], 0 offset:48 ; 4-byte Folded Spill
	v_lshlrev_b64 v[4:5], 1, v[26:27]
	v_add_u32_e32 v16, v0, v17
	v_add_u32_e32 v18, v1, v17
	;; [unrolled: 1-line block ×3, first 2 shown]
	v_ashrrev_i32_e32 v17, 31, v16
	buffer_store_dword v4, off, s[96:99], 0 offset:52 ; 4-byte Folded Spill
	s_nop 0
	buffer_store_dword v5, off, s[96:99], 0 offset:56 ; 4-byte Folded Spill
	v_lshlrev_b64 v[4:5], 1, v[16:17]
	v_ashrrev_i32_e32 v19, 31, v18
	buffer_store_dword v4, off, s[96:99], 0 offset:60 ; 4-byte Folded Spill
	s_nop 0
	buffer_store_dword v5, off, s[96:99], 0 offset:64 ; 4-byte Folded Spill
	v_lshlrev_b64 v[4:5], 1, v[18:19]
	;; [unrolled: 5-line block ×3, first 2 shown]
	v_add_u32_e32 v22, v0, v23
	v_mul_lo_u32 v25, v24, s43
	v_add_u32_e32 v24, v1, v23
	v_add_u32_e32 v34, v14, v23
	v_ashrrev_i32_e32 v23, 31, v22
	buffer_store_dword v4, off, s[96:99], 0 offset:76 ; 4-byte Folded Spill
	s_nop 0
	buffer_store_dword v5, off, s[96:99], 0 offset:80 ; 4-byte Folded Spill
	v_lshlrev_b64 v[4:5], 1, v[22:23]
	v_cmp_lt_i32_e64 s[6:7], -1, v28
	v_add_u32_e32 v28, v0, v25
	v_add_u32_e32 v32, v1, v25
	;; [unrolled: 1-line block ×3, first 2 shown]
	v_ashrrev_i32_e32 v25, 31, v24
	buffer_store_dword v4, off, s[96:99], 0 offset:84 ; 4-byte Folded Spill
	s_nop 0
	buffer_store_dword v5, off, s[96:99], 0 offset:88 ; 4-byte Folded Spill
	v_lshlrev_b64 v[4:5], 1, v[24:25]
	v_ashrrev_i32_e32 v35, 31, v34
	buffer_store_dword v4, off, s[96:99], 0 offset:92 ; 4-byte Folded Spill
	s_nop 0
	buffer_store_dword v5, off, s[96:99], 0 offset:96 ; 4-byte Folded Spill
	v_lshlrev_b64 v[4:5], 1, v[34:35]
	;; [unrolled: 5-line block ×5, first 2 shown]
	v_add_u32_e32 v36, v0, v42
	v_ashrrev_i32_e32 v37, 31, v36
	buffer_store_dword v4, off, s[96:99], 0 offset:124 ; 4-byte Folded Spill
	s_nop 0
	buffer_store_dword v5, off, s[96:99], 0 offset:128 ; 4-byte Folded Spill
	v_lshlrev_b64 v[4:5], 1, v[36:37]
	v_add_u32_e32 v40, v1, v42
	v_ashrrev_i32_e32 v41, 31, v40
	buffer_store_dword v4, off, s[96:99], 0 offset:132 ; 4-byte Folded Spill
	s_nop 0
	buffer_store_dword v5, off, s[96:99], 0 offset:136 ; 4-byte Folded Spill
	v_mul_lo_u32 v47, v21, s43
	v_lshlrev_b64 v[4:5], 1, v[40:41]
	v_cmp_lt_i32_e64 s[12:13], -1, v20
	v_add_u32_e32 v20, v14, v42
	v_ashrrev_i32_e32 v21, 31, v20
	buffer_store_dword v4, off, s[96:99], 0 offset:140 ; 4-byte Folded Spill
	s_nop 0
	buffer_store_dword v5, off, s[96:99], 0 offset:144 ; 4-byte Folded Spill
	v_lshlrev_b64 v[4:5], 1, v[20:21]
	v_add_u32_e32 v42, v0, v47
	v_ashrrev_i32_e32 v43, 31, v42
	buffer_store_dword v4, off, s[96:99], 0 offset:148 ; 4-byte Folded Spill
	s_nop 0
	buffer_store_dword v5, off, s[96:99], 0 offset:152 ; 4-byte Folded Spill
	v_lshlrev_b64 v[4:5], 1, v[42:43]
	v_add_u32_e32 v44, v1, v47
	v_ashrrev_i32_e32 v45, 31, v44
	buffer_store_dword v4, off, s[96:99], 0 offset:156 ; 4-byte Folded Spill
	s_nop 0
	buffer_store_dword v5, off, s[96:99], 0 offset:160 ; 4-byte Folded Spill
	s_and_b64 s[84:85], s[14:15], vcc
	v_cmp_lt_i32_e64 s[14:15], -1, v15
	v_mul_lo_u32 v15, v46, s43
	v_lshlrev_b64 v[4:5], 1, v[44:45]
	v_add_u32_e32 v46, v14, v47
	v_ashrrev_i32_e32 v47, 31, v46
	buffer_store_dword v4, off, s[96:99], 0 offset:164 ; 4-byte Folded Spill
	s_nop 0
	buffer_store_dword v5, off, s[96:99], 0 offset:168 ; 4-byte Folded Spill
	v_lshlrev_b64 v[4:5], 1, v[46:47]
	v_add_u32_e32 v48, v0, v15
	v_ashrrev_i32_e32 v49, 31, v48
	buffer_store_dword v4, off, s[96:99], 0 offset:172 ; 4-byte Folded Spill
	s_nop 0
	buffer_store_dword v5, off, s[96:99], 0 offset:176 ; 4-byte Folded Spill
	;; [unrolled: 6-line block ×3, first 2 shown]
	v_mul_lo_u32 v56, v52, s43
	v_lshlrev_b64 v[4:5], 1, v[50:51]
	v_add_u32_e32 v52, v14, v15
	v_ashrrev_i32_e32 v53, 31, v52
	buffer_store_dword v4, off, s[96:99], 0 offset:188 ; 4-byte Folded Spill
	s_nop 0
	buffer_store_dword v5, off, s[96:99], 0 offset:192 ; 4-byte Folded Spill
	s_and_b64 s[0:1], s[0:1], s[6:7]
	v_lshlrev_b64 v[4:5], 1, v[52:53]
	s_and_b64 s[6:7], s[0:1], vcc
	s_and_b64 s[0:1], s[94:95], s[10:11]
	v_add_u32_e32 v54, v0, v56
	v_add_u32_e32 v0, v1, v56
	s_and_b64 s[10:11], s[0:1], vcc
	s_and_b64 s[0:1], s[92:93], s[8:9]
	v_ashrrev_i32_e32 v55, 31, v54
	v_ashrrev_i32_e32 v1, 31, v0
	buffer_store_dword v4, off, s[96:99], 0 offset:196 ; 4-byte Folded Spill
	s_nop 0
	buffer_store_dword v5, off, s[96:99], 0 offset:200 ; 4-byte Folded Spill
	s_and_b64 s[8:9], s[0:1], vcc
	s_and_b64 s[0:1], s[90:91], s[12:13]
	v_lshlrev_b64 v[4:5], 1, v[54:55]
	v_lshlrev_b64 v[0:1], 1, v[0:1]
	s_and_b64 s[12:13], s[0:1], vcc
	s_and_b64 s[0:1], s[88:89], s[14:15]
	v_add_u32_e32 v14, v14, v56
	s_and_b64 s[14:15], s[0:1], vcc
	v_ashrrev_i32_e32 v15, 31, v14
	buffer_store_dword v4, off, s[96:99], 0 offset:204 ; 4-byte Folded Spill
	s_nop 0
	buffer_store_dword v5, off, s[96:99], 0 offset:208 ; 4-byte Folded Spill
	buffer_store_dword v0, off, s[96:99], 0 offset:212 ; 4-byte Folded Spill
	s_nop 0
	buffer_store_dword v1, off, s[96:99], 0 offset:216 ; 4-byte Folded Spill
	s_mul_i32 s0, s57, s40
	v_lshlrev_b64 v[0:1], 1, v[14:15]
	v_mul_lo_u32 v58, s0, v57
	s_and_b64 s[2:3], s[54:55], s[2:3]
	s_and_b64 s[4:5], s[52:53], s[4:5]
	buffer_store_dword v0, off, s[96:99], 0 offset:220 ; 4-byte Folded Spill
	s_nop 0
	buffer_store_dword v1, off, s[96:99], 0 offset:224 ; 4-byte Folded Spill
	s_and_b64 s[86:87], s[86:87], vcc
	s_and_b64 s[2:3], s[2:3], vcc
	;; [unrolled: 1-line block ×3, first 2 shown]
	s_mov_b64 s[88:89], 0
	v_add_u32_e32 v0, s40, v60
	v_mov_b32_e32 v1, 0
	buffer_store_dword v0, off, s[96:99], 0 offset:8 ; 4-byte Folded Spill
	buffer_store_dword v57, off, s[96:99], 0 offset:252 ; 4-byte Folded Spill
	s_branch .LBB22_7
.LBB22_6:                               ;   in Loop: Header=BB22_7 Depth=2
	s_or_b64 exec, exec, s[0:1]
	buffer_load_dword v4, off, s[96:99], 0  ; 4-byte Folded Reload
	v_add_co_u32_e32 v2, vcc, 54, v2
	v_addc_co_u32_e32 v3, vcc, 0, v3, vcc
	v_add_u32_e32 v60, 1, v60
	v_add_u32_e32 v58, s57, v58
	s_waitcnt vmcnt(0)
	v_fma_mix_f32 v1, v59, v4, v1 op_sel_hi:[0,1,0]
	v_fma_mix_f32 v1, v7, v5, v1 op_sel_hi:[0,1,0]
	;; [unrolled: 1-line block ×3, first 2 shown]
	buffer_load_dword v0, off, s[96:99], 0 offset:8 ; 4-byte Folded Reload
	v_fma_mix_f32 v1, v11, v57, v1 op_sel_hi:[0,1,0]
	v_fma_mix_f32 v1, v10, v12, v1 op_sel_hi:[0,1,0]
	v_fma_mix_f32 v1, v15, v13, v1 op_sel_hi:[0,1,0]
	v_fma_mix_f32 v1, v14, v16, v1 op_sel_hi:[0,1,0]
	v_fma_mix_f32 v1, v19, v17, v1 op_sel_hi:[0,1,0]
	v_fma_mix_f32 v1, v18, v20, v1 op_sel_hi:[0,1,0]
	v_fma_mix_f32 v1, v23, v21, v1 op_sel_hi:[0,1,0]
	v_fma_mix_f32 v1, v22, v24, v1 op_sel_hi:[0,1,0]
	v_fma_mix_f32 v1, v27, v25, v1 op_sel_hi:[0,1,0]
	v_fma_mix_f32 v1, v26, v28, v1 op_sel_hi:[0,1,0]
	v_fma_mix_f32 v1, v31, v29, v1 op_sel_hi:[0,1,0]
	v_fma_mix_f32 v1, v30, v32, v1 op_sel_hi:[0,1,0]
	v_fma_mix_f32 v1, v35, v33, v1 op_sel_hi:[0,1,0]
	v_fma_mix_f32 v1, v34, v36, v1 op_sel_hi:[0,1,0]
	v_fma_mix_f32 v1, v39, v37, v1 op_sel_hi:[0,1,0]
	v_fma_mix_f32 v1, v38, v40, v1 op_sel_hi:[0,1,0]
	v_fma_mix_f32 v1, v43, v41, v1 op_sel_hi:[0,1,0]
	v_fma_mix_f32 v1, v42, v44, v1 op_sel_hi:[0,1,0]
	v_fma_mix_f32 v1, v47, v45, v1 op_sel_hi:[0,1,0]
	v_fma_mix_f32 v1, v46, v48, v1 op_sel_hi:[0,1,0]
	v_fma_mix_f32 v1, v51, v49, v1 op_sel_hi:[0,1,0]
	v_fma_mix_f32 v1, v50, v52, v1 op_sel_hi:[0,1,0]
	v_fma_mix_f32 v1, v55, v53, v1 op_sel_hi:[0,1,0]
	v_fma_mix_f32 v1, v54, v56, v1 op_sel_hi:[0,1,0]
	s_waitcnt vmcnt(0)
	v_cmp_ge_i32_e32 vcc, v60, v0
	s_or_b64 s[88:89], vcc, s[88:89]
	s_andn2_b64 exec, exec, s[88:89]
	s_cbranch_execz .LBB22_2
.LBB22_7:                               ;   Parent Loop BB22_4 Depth=1
                                        ; =>  This Inner Loop Header: Depth=2
	v_ashrrev_i32_e32 v59, 31, v58
	v_lshlrev_b64 v[4:5], 1, v[58:59]
	global_load_ushort v0, v[2:3], off
	v_add_co_u32_e32 v61, vcc, v62, v4
	buffer_load_dword v4, off, s[96:99], 0 offset:4 ; 4-byte Folded Reload
	v_mov_b32_e32 v59, 0
	s_waitcnt vmcnt(1)
	buffer_store_dword v0, off, s[96:99], 0 ; 4-byte Folded Spill
	s_waitcnt vmcnt(1)
	v_addc_co_u32_e32 v4, vcc, v4, v5, vcc
	s_and_saveexec_b64 s[0:1], s[26:27]
	s_cbranch_execz .LBB22_9
; %bb.8:                                ;   in Loop: Header=BB22_7 Depth=2
	buffer_load_dword v5, off, s[96:99], 0 offset:12 ; 4-byte Folded Reload
	buffer_load_dword v6, off, s[96:99], 0 offset:16 ; 4-byte Folded Reload
	s_waitcnt vmcnt(1)
	v_add_co_u32_e32 v5, vcc, v61, v5
	s_waitcnt vmcnt(0)
	v_addc_co_u32_e32 v6, vcc, v4, v6, vcc
	global_load_ushort v5, v[5:6], off
	s_waitcnt vmcnt(0)
	v_cvt_f32_f16_e32 v59, v5
.LBB22_9:                               ;   in Loop: Header=BB22_7 Depth=2
	s_or_b64 exec, exec, s[0:1]
	global_load_ushort v5, v[2:3], off offset:2
	v_mov_b32_e32 v6, 0
	v_mov_b32_e32 v7, 0
	s_and_saveexec_b64 s[0:1], s[28:29]
	s_cbranch_execz .LBB22_11
; %bb.10:                               ;   in Loop: Header=BB22_7 Depth=2
	buffer_load_dword v7, off, s[96:99], 0 offset:20 ; 4-byte Folded Reload
	buffer_load_dword v8, off, s[96:99], 0 offset:24 ; 4-byte Folded Reload
	s_waitcnt vmcnt(1)
	v_add_co_u32_e32 v7, vcc, v61, v7
	s_waitcnt vmcnt(0)
	v_addc_co_u32_e32 v8, vcc, v4, v8, vcc
	global_load_ushort v7, v[7:8], off
	s_waitcnt vmcnt(0)
	v_cvt_f32_f16_e32 v7, v7
.LBB22_11:                              ;   in Loop: Header=BB22_7 Depth=2
	s_or_b64 exec, exec, s[0:1]
	global_load_ushort v0, v[2:3], off offset:4
	s_and_saveexec_b64 s[0:1], s[30:31]
	s_cbranch_execz .LBB22_13
; %bb.12:                               ;   in Loop: Header=BB22_7 Depth=2
	buffer_load_dword v9, off, s[96:99], 0 offset:28 ; 4-byte Folded Reload
	buffer_load_dword v10, off, s[96:99], 0 offset:32 ; 4-byte Folded Reload
	s_waitcnt vmcnt(1)
	v_add_co_u32_e32 v9, vcc, v61, v9
	s_waitcnt vmcnt(0)
	v_addc_co_u32_e32 v10, vcc, v4, v10, vcc
	global_load_ushort v6, v[9:10], off
	s_waitcnt vmcnt(0)
	v_cvt_f32_f16_e32 v6, v6
.LBB22_13:                              ;   in Loop: Header=BB22_7 Depth=2
	s_or_b64 exec, exec, s[0:1]
	global_load_ushort v57, v[2:3], off offset:6
	v_mov_b32_e32 v10, 0
	v_mov_b32_e32 v11, 0
	s_and_saveexec_b64 s[0:1], s[64:65]
	s_cbranch_execz .LBB22_15
; %bb.14:                               ;   in Loop: Header=BB22_7 Depth=2
	buffer_load_dword v11, off, s[96:99], 0 offset:36 ; 4-byte Folded Reload
	buffer_load_dword v12, off, s[96:99], 0 offset:40 ; 4-byte Folded Reload
	s_waitcnt vmcnt(1)
	v_add_co_u32_e32 v11, vcc, v61, v11
	s_waitcnt vmcnt(0)
	v_addc_co_u32_e32 v12, vcc, v4, v12, vcc
	global_load_ushort v11, v[11:12], off
	s_waitcnt vmcnt(0)
	v_cvt_f32_f16_e32 v11, v11
.LBB22_15:                              ;   in Loop: Header=BB22_7 Depth=2
	s_or_b64 exec, exec, s[0:1]
	global_load_ushort v12, v[2:3], off offset:8
	s_and_saveexec_b64 s[0:1], s[66:67]
	s_cbranch_execz .LBB22_17
; %bb.16:                               ;   in Loop: Header=BB22_7 Depth=2
	buffer_load_dword v13, off, s[96:99], 0 offset:44 ; 4-byte Folded Reload
	buffer_load_dword v14, off, s[96:99], 0 offset:48 ; 4-byte Folded Reload
	s_waitcnt vmcnt(1)
	v_add_co_u32_e32 v13, vcc, v61, v13
	s_waitcnt vmcnt(0)
	v_addc_co_u32_e32 v14, vcc, v4, v14, vcc
	global_load_ushort v10, v[13:14], off
	s_waitcnt vmcnt(0)
	v_cvt_f32_f16_e32 v10, v10
.LBB22_17:                              ;   in Loop: Header=BB22_7 Depth=2
	;; [unrolled: 32-line block ×12, first 2 shown]
	s_or_b64 exec, exec, s[0:1]
	global_load_ushort v53, v[2:3], off offset:50
	v_mov_b32_e32 v54, 0
	v_mov_b32_e32 v55, 0
	s_and_saveexec_b64 s[0:1], s[12:13]
	s_cbranch_execz .LBB22_59
; %bb.58:                               ;   in Loop: Header=BB22_7 Depth=2
	buffer_load_dword v55, off, s[96:99], 0 offset:212 ; 4-byte Folded Reload
	buffer_load_dword v56, off, s[96:99], 0 offset:216 ; 4-byte Folded Reload
	s_waitcnt vmcnt(1)
	v_add_co_u32_e32 v55, vcc, v61, v55
	s_waitcnt vmcnt(0)
	v_addc_co_u32_e32 v56, vcc, v4, v56, vcc
	global_load_ushort v55, v[55:56], off
	s_waitcnt vmcnt(0)
	v_cvt_f32_f16_e32 v55, v55
.LBB22_59:                              ;   in Loop: Header=BB22_7 Depth=2
	s_or_b64 exec, exec, s[0:1]
	global_load_ushort v56, v[2:3], off offset:52
	s_and_saveexec_b64 s[0:1], s[14:15]
	s_cbranch_execz .LBB22_6
; %bb.60:                               ;   in Loop: Header=BB22_7 Depth=2
	buffer_load_dword v8, off, s[96:99], 0 offset:220 ; 4-byte Folded Reload
	buffer_load_dword v9, off, s[96:99], 0 offset:224 ; 4-byte Folded Reload
	v_mov_b32_e32 v54, v62
	s_waitcnt vmcnt(1)
	v_add_co_u32_e32 v61, vcc, v61, v8
	s_waitcnt vmcnt(0)
	v_addc_co_u32_e32 v62, vcc, v4, v9, vcc
	global_load_ushort v4, v[61:62], off
	v_mov_b32_e32 v62, v54
	s_waitcnt vmcnt(0)
	v_cvt_f32_f16_e32 v54, v4
	s_branch .LBB22_6
.LBB22_61:                              ;   in Loop: Header=BB22_4 Depth=1
	v_mov_b32_e32 v0, 0
	s_branch .LBB22_3
.LBB22_62:
	s_endpgm
	.section	.rodata,"a",@progbits
	.p2align	6, 0x0
	.amdhsa_kernel _ZN2at6native12_GLOBAL__N_143conv_depthwise3d_cuda_backward_input_kernelIN3c104HalfEfLi3ELi3ELi3ELi1ELi1ELi1ELi1ELi1ELi1EEEvN5torch10headeronly6detail27GenericPackedTensorAccessorINS7_14TensorAccessorINS3_8ArrayRefIlEEKT_Lm4ENS6_16DefaultPtrTraitsEiEENS_6detail16IndexBoundsCheckILm5EiEESD_Lm5ESE_iEENS8_INS9_ISB_SC_Lm4ESE_iEESI_SC_Lm5ESE_iEESJ_iiiiiiiii
		.amdhsa_group_segment_fixed_size 0
		.amdhsa_private_segment_fixed_size 276
		.amdhsa_kernarg_size 440
		.amdhsa_user_sgpr_count 6
		.amdhsa_user_sgpr_private_segment_buffer 1
		.amdhsa_user_sgpr_dispatch_ptr 0
		.amdhsa_user_sgpr_queue_ptr 0
		.amdhsa_user_sgpr_kernarg_segment_ptr 1
		.amdhsa_user_sgpr_dispatch_id 0
		.amdhsa_user_sgpr_flat_scratch_init 0
		.amdhsa_user_sgpr_private_segment_size 0
		.amdhsa_uses_dynamic_stack 0
		.amdhsa_system_sgpr_private_segment_wavefront_offset 1
		.amdhsa_system_sgpr_workgroup_id_x 1
		.amdhsa_system_sgpr_workgroup_id_y 0
		.amdhsa_system_sgpr_workgroup_id_z 0
		.amdhsa_system_sgpr_workgroup_info 0
		.amdhsa_system_vgpr_workitem_id 0
		.amdhsa_next_free_vgpr 64
		.amdhsa_next_free_sgpr 100
		.amdhsa_reserve_vcc 1
		.amdhsa_reserve_flat_scratch 0
		.amdhsa_float_round_mode_32 0
		.amdhsa_float_round_mode_16_64 0
		.amdhsa_float_denorm_mode_32 3
		.amdhsa_float_denorm_mode_16_64 3
		.amdhsa_dx10_clamp 1
		.amdhsa_ieee_mode 1
		.amdhsa_fp16_overflow 0
		.amdhsa_exception_fp_ieee_invalid_op 0
		.amdhsa_exception_fp_denorm_src 0
		.amdhsa_exception_fp_ieee_div_zero 0
		.amdhsa_exception_fp_ieee_overflow 0
		.amdhsa_exception_fp_ieee_underflow 0
		.amdhsa_exception_fp_ieee_inexact 0
		.amdhsa_exception_int_div_zero 0
	.end_amdhsa_kernel
	.section	.text._ZN2at6native12_GLOBAL__N_143conv_depthwise3d_cuda_backward_input_kernelIN3c104HalfEfLi3ELi3ELi3ELi1ELi1ELi1ELi1ELi1ELi1EEEvN5torch10headeronly6detail27GenericPackedTensorAccessorINS7_14TensorAccessorINS3_8ArrayRefIlEEKT_Lm4ENS6_16DefaultPtrTraitsEiEENS_6detail16IndexBoundsCheckILm5EiEESD_Lm5ESE_iEENS8_INS9_ISB_SC_Lm4ESE_iEESI_SC_Lm5ESE_iEESJ_iiiiiiiii,"axG",@progbits,_ZN2at6native12_GLOBAL__N_143conv_depthwise3d_cuda_backward_input_kernelIN3c104HalfEfLi3ELi3ELi3ELi1ELi1ELi1ELi1ELi1ELi1EEEvN5torch10headeronly6detail27GenericPackedTensorAccessorINS7_14TensorAccessorINS3_8ArrayRefIlEEKT_Lm4ENS6_16DefaultPtrTraitsEiEENS_6detail16IndexBoundsCheckILm5EiEESD_Lm5ESE_iEENS8_INS9_ISB_SC_Lm4ESE_iEESI_SC_Lm5ESE_iEESJ_iiiiiiiii,comdat
.Lfunc_end22:
	.size	_ZN2at6native12_GLOBAL__N_143conv_depthwise3d_cuda_backward_input_kernelIN3c104HalfEfLi3ELi3ELi3ELi1ELi1ELi1ELi1ELi1ELi1EEEvN5torch10headeronly6detail27GenericPackedTensorAccessorINS7_14TensorAccessorINS3_8ArrayRefIlEEKT_Lm4ENS6_16DefaultPtrTraitsEiEENS_6detail16IndexBoundsCheckILm5EiEESD_Lm5ESE_iEENS8_INS9_ISB_SC_Lm4ESE_iEESI_SC_Lm5ESE_iEESJ_iiiiiiiii, .Lfunc_end22-_ZN2at6native12_GLOBAL__N_143conv_depthwise3d_cuda_backward_input_kernelIN3c104HalfEfLi3ELi3ELi3ELi1ELi1ELi1ELi1ELi1ELi1EEEvN5torch10headeronly6detail27GenericPackedTensorAccessorINS7_14TensorAccessorINS3_8ArrayRefIlEEKT_Lm4ENS6_16DefaultPtrTraitsEiEENS_6detail16IndexBoundsCheckILm5EiEESD_Lm5ESE_iEENS8_INS9_ISB_SC_Lm4ESE_iEESI_SC_Lm5ESE_iEESJ_iiiiiiiii
                                        ; -- End function
	.set _ZN2at6native12_GLOBAL__N_143conv_depthwise3d_cuda_backward_input_kernelIN3c104HalfEfLi3ELi3ELi3ELi1ELi1ELi1ELi1ELi1ELi1EEEvN5torch10headeronly6detail27GenericPackedTensorAccessorINS7_14TensorAccessorINS3_8ArrayRefIlEEKT_Lm4ENS6_16DefaultPtrTraitsEiEENS_6detail16IndexBoundsCheckILm5EiEESD_Lm5ESE_iEENS8_INS9_ISB_SC_Lm4ESE_iEESI_SC_Lm5ESE_iEESJ_iiiiiiiii.num_vgpr, 64
	.set _ZN2at6native12_GLOBAL__N_143conv_depthwise3d_cuda_backward_input_kernelIN3c104HalfEfLi3ELi3ELi3ELi1ELi1ELi1ELi1ELi1ELi1EEEvN5torch10headeronly6detail27GenericPackedTensorAccessorINS7_14TensorAccessorINS3_8ArrayRefIlEEKT_Lm4ENS6_16DefaultPtrTraitsEiEENS_6detail16IndexBoundsCheckILm5EiEESD_Lm5ESE_iEENS8_INS9_ISB_SC_Lm4ESE_iEESI_SC_Lm5ESE_iEESJ_iiiiiiiii.num_agpr, 0
	.set _ZN2at6native12_GLOBAL__N_143conv_depthwise3d_cuda_backward_input_kernelIN3c104HalfEfLi3ELi3ELi3ELi1ELi1ELi1ELi1ELi1ELi1EEEvN5torch10headeronly6detail27GenericPackedTensorAccessorINS7_14TensorAccessorINS3_8ArrayRefIlEEKT_Lm4ENS6_16DefaultPtrTraitsEiEENS_6detail16IndexBoundsCheckILm5EiEESD_Lm5ESE_iEENS8_INS9_ISB_SC_Lm4ESE_iEESI_SC_Lm5ESE_iEESJ_iiiiiiiii.numbered_sgpr, 100
	.set _ZN2at6native12_GLOBAL__N_143conv_depthwise3d_cuda_backward_input_kernelIN3c104HalfEfLi3ELi3ELi3ELi1ELi1ELi1ELi1ELi1ELi1EEEvN5torch10headeronly6detail27GenericPackedTensorAccessorINS7_14TensorAccessorINS3_8ArrayRefIlEEKT_Lm4ENS6_16DefaultPtrTraitsEiEENS_6detail16IndexBoundsCheckILm5EiEESD_Lm5ESE_iEENS8_INS9_ISB_SC_Lm4ESE_iEESI_SC_Lm5ESE_iEESJ_iiiiiiiii.num_named_barrier, 0
	.set _ZN2at6native12_GLOBAL__N_143conv_depthwise3d_cuda_backward_input_kernelIN3c104HalfEfLi3ELi3ELi3ELi1ELi1ELi1ELi1ELi1ELi1EEEvN5torch10headeronly6detail27GenericPackedTensorAccessorINS7_14TensorAccessorINS3_8ArrayRefIlEEKT_Lm4ENS6_16DefaultPtrTraitsEiEENS_6detail16IndexBoundsCheckILm5EiEESD_Lm5ESE_iEENS8_INS9_ISB_SC_Lm4ESE_iEESI_SC_Lm5ESE_iEESJ_iiiiiiiii.private_seg_size, 276
	.set _ZN2at6native12_GLOBAL__N_143conv_depthwise3d_cuda_backward_input_kernelIN3c104HalfEfLi3ELi3ELi3ELi1ELi1ELi1ELi1ELi1ELi1EEEvN5torch10headeronly6detail27GenericPackedTensorAccessorINS7_14TensorAccessorINS3_8ArrayRefIlEEKT_Lm4ENS6_16DefaultPtrTraitsEiEENS_6detail16IndexBoundsCheckILm5EiEESD_Lm5ESE_iEENS8_INS9_ISB_SC_Lm4ESE_iEESI_SC_Lm5ESE_iEESJ_iiiiiiiii.uses_vcc, 1
	.set _ZN2at6native12_GLOBAL__N_143conv_depthwise3d_cuda_backward_input_kernelIN3c104HalfEfLi3ELi3ELi3ELi1ELi1ELi1ELi1ELi1ELi1EEEvN5torch10headeronly6detail27GenericPackedTensorAccessorINS7_14TensorAccessorINS3_8ArrayRefIlEEKT_Lm4ENS6_16DefaultPtrTraitsEiEENS_6detail16IndexBoundsCheckILm5EiEESD_Lm5ESE_iEENS8_INS9_ISB_SC_Lm4ESE_iEESI_SC_Lm5ESE_iEESJ_iiiiiiiii.uses_flat_scratch, 0
	.set _ZN2at6native12_GLOBAL__N_143conv_depthwise3d_cuda_backward_input_kernelIN3c104HalfEfLi3ELi3ELi3ELi1ELi1ELi1ELi1ELi1ELi1EEEvN5torch10headeronly6detail27GenericPackedTensorAccessorINS7_14TensorAccessorINS3_8ArrayRefIlEEKT_Lm4ENS6_16DefaultPtrTraitsEiEENS_6detail16IndexBoundsCheckILm5EiEESD_Lm5ESE_iEENS8_INS9_ISB_SC_Lm4ESE_iEESI_SC_Lm5ESE_iEESJ_iiiiiiiii.has_dyn_sized_stack, 0
	.set _ZN2at6native12_GLOBAL__N_143conv_depthwise3d_cuda_backward_input_kernelIN3c104HalfEfLi3ELi3ELi3ELi1ELi1ELi1ELi1ELi1ELi1EEEvN5torch10headeronly6detail27GenericPackedTensorAccessorINS7_14TensorAccessorINS3_8ArrayRefIlEEKT_Lm4ENS6_16DefaultPtrTraitsEiEENS_6detail16IndexBoundsCheckILm5EiEESD_Lm5ESE_iEENS8_INS9_ISB_SC_Lm4ESE_iEESI_SC_Lm5ESE_iEESJ_iiiiiiiii.has_recursion, 0
	.set _ZN2at6native12_GLOBAL__N_143conv_depthwise3d_cuda_backward_input_kernelIN3c104HalfEfLi3ELi3ELi3ELi1ELi1ELi1ELi1ELi1ELi1EEEvN5torch10headeronly6detail27GenericPackedTensorAccessorINS7_14TensorAccessorINS3_8ArrayRefIlEEKT_Lm4ENS6_16DefaultPtrTraitsEiEENS_6detail16IndexBoundsCheckILm5EiEESD_Lm5ESE_iEENS8_INS9_ISB_SC_Lm4ESE_iEESI_SC_Lm5ESE_iEESJ_iiiiiiiii.has_indirect_call, 0
	.section	.AMDGPU.csdata,"",@progbits
; Kernel info:
; codeLenInByte = 5672
; TotalNumSgprs: 104
; NumVgprs: 64
; ScratchSize: 276
; MemoryBound: 0
; FloatMode: 240
; IeeeMode: 1
; LDSByteSize: 0 bytes/workgroup (compile time only)
; SGPRBlocks: 12
; VGPRBlocks: 15
; NumSGPRsForWavesPerEU: 104
; NumVGPRsForWavesPerEU: 64
; Occupancy: 4
; WaveLimiterHint : 0
; COMPUTE_PGM_RSRC2:SCRATCH_EN: 1
; COMPUTE_PGM_RSRC2:USER_SGPR: 6
; COMPUTE_PGM_RSRC2:TRAP_HANDLER: 0
; COMPUTE_PGM_RSRC2:TGID_X_EN: 1
; COMPUTE_PGM_RSRC2:TGID_Y_EN: 0
; COMPUTE_PGM_RSRC2:TGID_Z_EN: 0
; COMPUTE_PGM_RSRC2:TIDIG_COMP_CNT: 0
	.section	.text._ZN2at6native12_GLOBAL__N_143conv_depthwise3d_cuda_backward_input_kernelIN3c104HalfEfLi3ELi3ELi3ELi1ELi1ELi1ELin1ELin1ELin1EEEvN5torch10headeronly6detail27GenericPackedTensorAccessorINS7_14TensorAccessorINS3_8ArrayRefIlEEKT_Lm4ENS6_16DefaultPtrTraitsEiEENS_6detail16IndexBoundsCheckILm5EiEESD_Lm5ESE_iEENS8_INS9_ISB_SC_Lm4ESE_iEESI_SC_Lm5ESE_iEESJ_iiiiiiiii,"axG",@progbits,_ZN2at6native12_GLOBAL__N_143conv_depthwise3d_cuda_backward_input_kernelIN3c104HalfEfLi3ELi3ELi3ELi1ELi1ELi1ELin1ELin1ELin1EEEvN5torch10headeronly6detail27GenericPackedTensorAccessorINS7_14TensorAccessorINS3_8ArrayRefIlEEKT_Lm4ENS6_16DefaultPtrTraitsEiEENS_6detail16IndexBoundsCheckILm5EiEESD_Lm5ESE_iEENS8_INS9_ISB_SC_Lm4ESE_iEESI_SC_Lm5ESE_iEESJ_iiiiiiiii,comdat
	.globl	_ZN2at6native12_GLOBAL__N_143conv_depthwise3d_cuda_backward_input_kernelIN3c104HalfEfLi3ELi3ELi3ELi1ELi1ELi1ELin1ELin1ELin1EEEvN5torch10headeronly6detail27GenericPackedTensorAccessorINS7_14TensorAccessorINS3_8ArrayRefIlEEKT_Lm4ENS6_16DefaultPtrTraitsEiEENS_6detail16IndexBoundsCheckILm5EiEESD_Lm5ESE_iEENS8_INS9_ISB_SC_Lm4ESE_iEESI_SC_Lm5ESE_iEESJ_iiiiiiiii ; -- Begin function _ZN2at6native12_GLOBAL__N_143conv_depthwise3d_cuda_backward_input_kernelIN3c104HalfEfLi3ELi3ELi3ELi1ELi1ELi1ELin1ELin1ELin1EEEvN5torch10headeronly6detail27GenericPackedTensorAccessorINS7_14TensorAccessorINS3_8ArrayRefIlEEKT_Lm4ENS6_16DefaultPtrTraitsEiEENS_6detail16IndexBoundsCheckILm5EiEESD_Lm5ESE_iEENS8_INS9_ISB_SC_Lm4ESE_iEESI_SC_Lm5ESE_iEESJ_iiiiiiiii
	.p2align	8
	.type	_ZN2at6native12_GLOBAL__N_143conv_depthwise3d_cuda_backward_input_kernelIN3c104HalfEfLi3ELi3ELi3ELi1ELi1ELi1ELin1ELin1ELin1EEEvN5torch10headeronly6detail27GenericPackedTensorAccessorINS7_14TensorAccessorINS3_8ArrayRefIlEEKT_Lm4ENS6_16DefaultPtrTraitsEiEENS_6detail16IndexBoundsCheckILm5EiEESD_Lm5ESE_iEENS8_INS9_ISB_SC_Lm4ESE_iEESI_SC_Lm5ESE_iEESJ_iiiiiiiii,@function
_ZN2at6native12_GLOBAL__N_143conv_depthwise3d_cuda_backward_input_kernelIN3c104HalfEfLi3ELi3ELi3ELi1ELi1ELi1ELin1ELin1ELin1EEEvN5torch10headeronly6detail27GenericPackedTensorAccessorINS7_14TensorAccessorINS3_8ArrayRefIlEEKT_Lm4ENS6_16DefaultPtrTraitsEiEENS_6detail16IndexBoundsCheckILm5EiEESD_Lm5ESE_iEENS8_INS9_ISB_SC_Lm4ESE_iEESI_SC_Lm5ESE_iEESJ_iiiiiiiii: ; @_ZN2at6native12_GLOBAL__N_143conv_depthwise3d_cuda_backward_input_kernelIN3c104HalfEfLi3ELi3ELi3ELi1ELi1ELi1ELin1ELin1ELin1EEEvN5torch10headeronly6detail27GenericPackedTensorAccessorINS7_14TensorAccessorINS3_8ArrayRefIlEEKT_Lm4ENS6_16DefaultPtrTraitsEiEENS_6detail16IndexBoundsCheckILm5EiEESD_Lm5ESE_iEENS8_INS9_ISB_SC_Lm4ESE_iEESI_SC_Lm5ESE_iEESJ_iiiiiiiii
; %bb.0:
	s_load_dwordx4 s[8:11], s[4:5], 0x38
	s_load_dwordx2 s[16:17], s[4:5], 0x48
	s_mov_b64 s[98:99], s[2:3]
	s_mov_b64 s[96:97], s[0:1]
	s_add_u32 s96, s96, s7
	s_addc_u32 s97, s97, 0
	s_waitcnt lgkmcnt(0)
	s_abs_i32 s0, s9
	v_cvt_f32_u32_e32 v2, s0
	s_load_dword s2, s[4:5], 0xc4
                                        ; implicit-def: $vgpr62 : SGPR spill to VGPR lane
	v_mov_b32_e32 v1, 0
	v_writelane_b32 v62, s0, 0
	v_rcp_iflag_f32_e32 v2, v2
	s_add_u32 s0, s4, 0xb8
	v_mov_b32_e32 v3, s6
	s_addc_u32 s1, s5, 0
	s_waitcnt lgkmcnt(0)
	s_and_b32 s2, s2, 0xffff
	v_mul_f32_e32 v2, 0x4f7ffffe, v2
	v_mad_u64_u32 v[3:4], s[6:7], s2, v3, v[0:1]
	v_writelane_b32 v62, s8, 1
	v_cvt_u32_f32_e32 v0, v2
	v_writelane_b32 v62, s9, 2
	v_writelane_b32 v62, s10, 3
	s_mul_i32 s6, s17, s8
	v_writelane_b32 v62, s11, 4
	s_ashr_i32 s7, s6, 31
	v_writelane_b32 v62, s6, 5
	v_cmp_gt_i64_e32 vcc, s[6:7], v[3:4]
	v_writelane_b32 v62, s7, 6
	v_readfirstlane_b32 s3, v0
	s_and_saveexec_b64 s[6:7], vcc
	s_cbranch_execz .LBB23_63
; %bb.1:
	s_load_dwordx4 s[20:23], s[4:5], 0xc
	s_load_dwordx4 s[12:15], s[4:5], 0x38
	s_load_dwordx2 s[8:9], s[4:5], 0x0
	v_readlane_b32 s11, v62, 0
	s_sub_i32 s6, 0, s11
	s_waitcnt lgkmcnt(0)
	s_ashr_i32 s7, s20, 31
	s_ashr_i32 s10, s13, 31
	s_load_dwordx2 s[12:13], s[4:5], 0xa0
	v_writelane_b32 v62, s8, 7
	v_writelane_b32 v62, s9, 8
	;; [unrolled: 1-line block ×3, first 2 shown]
	s_mul_i32 s9, s6, s3
	v_writelane_b32 v62, s21, 10
	s_mul_hi_u32 s9, s3, s9
	v_writelane_b32 v62, s22, 11
	s_abs_i32 s8, s20
	s_add_i32 s3, s3, s9
	v_writelane_b32 v62, s23, 12
	s_mul_hi_u32 s3, s8, s3
	s_waitcnt lgkmcnt(0)
	v_writelane_b32 v62, s12, 13
	s_mul_i32 s9, s3, s11
	v_writelane_b32 v62, s13, 14
	s_sub_i32 s8, s8, s9
	v_writelane_b32 v62, s10, 15
	s_xor_b32 s7, s7, s10
	s_add_i32 s9, s3, 1
	s_sub_i32 s10, s8, s11
	s_cmp_ge_u32 s8, s11
	s_cselect_b32 s3, s9, s3
	s_cselect_b32 s8, s10, s8
	s_add_i32 s9, s3, 1
	s_cmp_ge_u32 s8, s11
	s_cselect_b32 s3, s9, s3
	s_xor_b32 s3, s3, s7
	s_sub_i32 s7, s3, s7
	s_load_dword s3, s[0:1], 0x0
	s_load_dwordx4 s[8:11], s[4:5], 0x90
	s_load_dword s12, s[4:5], 0x7c
	v_writelane_b32 v62, s7, 16
	s_load_dwordx4 s[20:23], s[4:5], 0x50
	s_cmp_gt_i32 s7, 0
	s_cselect_b64 s[0:1], -1, 0
	s_waitcnt lgkmcnt(0)
	v_writelane_b32 v62, s12, 17
	s_load_dwordx2 s[12:13], s[4:5], 0x1c
	s_abs_i32 s7, s16
	v_cvt_f32_u32_e32 v1, s7
	s_mul_i32 s2, s3, s2
	s_abs_i32 s3, s15
	s_waitcnt lgkmcnt(0)
	v_writelane_b32 v62, s12, 18
	v_writelane_b32 v62, s13, 19
	s_load_dwordx2 s[12:13], s[4:5], 0x30
	v_rcp_iflag_f32_e32 v1, v1
	v_cvt_f32_u32_e32 v2, s3
	v_mov_b32_e32 v7, v4
                                        ; kill: killed $sgpr4 killed $sgpr5
	v_mov_b32_e32 v6, v3
	s_waitcnt lgkmcnt(0)
	v_writelane_b32 v62, s12, 20
	v_writelane_b32 v62, s13, 21
	s_load_dwordx2 s[12:13], s[4:5], 0x60
	v_mul_f32_e32 v1, 0x4f7ffffe, v1
	v_cvt_u32_f32_e32 v1, v1
	v_rcp_iflag_f32_e32 v2, v2
	s_abs_i32 s4, s14
	s_waitcnt lgkmcnt(0)
	v_writelane_b32 v62, s12, 22
	v_writelane_b32 v62, s13, 23
	;; [unrolled: 1-line block ×7, first 2 shown]
	s_ashr_i32 s2, s16, 31
	v_writelane_b32 v62, s2, 29
	s_sub_i32 s2, 0, s7
	v_mul_lo_u32 v3, s2, v1
	v_cvt_f32_u32_e32 v4, s4
	v_mul_f32_e32 v2, 0x4f7ffffe, v2
	v_cvt_u32_f32_e32 v2, v2
	v_mul_hi_u32 v3, v1, v3
	v_rcp_iflag_f32_e32 v4, v4
	s_sub_i32 s2, 0, s3
	v_writelane_b32 v62, s7, 30
	v_add_u32_e32 v1, v1, v3
	buffer_store_dword v1, off, s[96:99], 0 offset:256 ; 4-byte Folded Spill
	v_mul_lo_u32 v1, s2, v2
	v_mul_f32_e32 v3, 0x4f7ffffe, v4
	v_cvt_u32_f32_e32 v3, v3
	v_writelane_b32 v62, s3, 31
	s_ashr_i32 s2, s15, 31
	v_writelane_b32 v62, s2, 32
	v_mul_hi_u32 v1, v2, v1
	s_sub_i32 s2, 0, s4
	v_mul_lo_u32 v4, s2, v3
	s_abs_i32 s2, s8
	v_cvt_f32_u32_e32 v5, s2
	v_add_u32_e32 v1, v2, v1
	buffer_store_dword v1, off, s[96:99], 0 offset:260 ; 4-byte Folded Spill
	v_mul_hi_u32 v1, v3, v4
	v_mul_lo_u32 v2, s6, v0
	v_rcp_iflag_f32_e32 v4, v5
	v_writelane_b32 v62, s4, 33
	s_ashr_i32 s3, s14, 31
	v_writelane_b32 v62, s3, 34
	v_add_u32_e32 v1, v3, v1
	s_abs_i32 s3, s9
	buffer_store_dword v1, off, s[96:99], 0 offset:264 ; 4-byte Folded Spill
	v_mul_hi_u32 v1, v0, v2
	v_cvt_f32_u32_e32 v3, s3
	s_abs_i32 s33, s10
	v_mul_f32_e32 v2, 0x4f7ffffe, v4
	v_cvt_f32_u32_e32 v4, s33
	v_rcp_iflag_f32_e32 v3, v3
	v_add_u32_e32 v0, v0, v1
	v_cvt_u32_f32_e32 v2, v2
	buffer_store_dword v0, off, s[96:99], 0 offset:268 ; 4-byte Folded Spill
	v_rcp_iflag_f32_e32 v0, v4
	v_writelane_b32 v62, s2, 35
	s_sub_i32 s2, 0, s2
	v_mul_f32_e32 v3, 0x4f7ffffe, v3
	v_mul_lo_u32 v5, s2, v2
	v_cvt_u32_f32_e32 v3, v3
	v_mul_f32_e32 v0, 0x4f7ffffe, v0
	v_cvt_u32_f32_e32 v0, v0
	s_sub_i32 s2, 0, s3
	v_mul_hi_u32 v1, v2, v5
	v_mul_lo_u32 v4, s2, v3
	s_sub_i32 s2, 0, s33
	v_mul_lo_u32 v5, s2, v0
	v_writelane_b32 v62, s3, 36
	s_ashr_i32 s2, s8, 31
	v_add_u32_e32 v1, v2, v1
	v_writelane_b32 v62, s2, 37
	buffer_store_dword v1, off, s[96:99], 0 offset:272 ; 4-byte Folded Spill
	v_mul_hi_u32 v1, v0, v5
	s_ashr_i32 s2, s9, 31
	v_writelane_b32 v62, s2, 38
	v_writelane_b32 v62, s8, 39
	;; [unrolled: 1-line block ×4, first 2 shown]
	v_add_u32_e32 v0, v0, v1
	v_mul_hi_u32 v4, v3, v4
	v_writelane_b32 v62, s11, 42
	s_ashr_i32 s2, s10, 31
	buffer_store_dword v0, off, s[96:99], 0 offset:280 ; 4-byte Folded Spill
	v_cndmask_b32_e64 v0, 0, 1, s[0:1]
	v_writelane_b32 v62, s2, 43
	v_cmp_ne_u32_e64 s[0:1], 1, v0
	v_writelane_b32 v62, s0, 44
	v_writelane_b32 v62, s1, 45
	v_add_u32_e32 v2, v3, v4
	v_mov_b32_e32 v3, v6
	v_writelane_b32 v62, s16, 46
	v_mov_b32_e32 v4, v7
	s_mov_b64 s[8:9], 0
	v_writelane_b32 v62, s17, 47
	buffer_store_dword v2, off, s[96:99], 0 offset:276 ; 4-byte Folded Spill
.LBB23_2:                               ; =>This Loop Header: Depth=1
                                        ;     Child Loop BB23_5 Depth 2
	buffer_load_dword v1, off, s[96:99], 0 offset:256 ; 4-byte Folded Reload
	v_sub_u32_e32 v0, 0, v3
	v_max_i32_e32 v0, v3, v0
	v_writelane_b32 v62, s8, 48
	v_writelane_b32 v62, s9, 49
	v_readlane_b32 s0, v62, 30
	v_mov_b32_e32 v9, v4
	v_mov_b32_e32 v8, v3
	v_ashrrev_i32_e32 v3, 31, v8
	v_readlane_b32 s1, v62, 29
	v_xor_b32_e32 v3, s1, v3
	v_readlane_b32 s1, v62, 32
	s_waitcnt vmcnt(0)
	v_mul_hi_u32 v1, v0, v1
	v_mul_lo_u32 v2, v1, s0
	v_add_u32_e32 v4, 1, v1
	v_sub_u32_e32 v0, v0, v2
	v_cmp_le_u32_e32 vcc, s0, v0
	v_subrev_u32_e32 v2, s0, v0
	v_cndmask_b32_e32 v1, v1, v4, vcc
	v_cndmask_b32_e32 v0, v0, v2, vcc
	v_add_u32_e32 v2, 1, v1
	v_cmp_le_u32_e32 vcc, s0, v0
	v_cndmask_b32_e32 v0, v1, v2, vcc
	buffer_load_dword v2, off, s[96:99], 0 offset:260 ; 4-byte Folded Reload
	v_xor_b32_e32 v0, v0, v3
	v_sub_u32_e32 v0, v0, v3
	v_sub_u32_e32 v1, 0, v0
	v_max_i32_e32 v1, v0, v1
	v_readlane_b32 s0, v62, 31
	v_ashrrev_i32_e32 v4, 31, v0
	v_xor_b32_e32 v4, s1, v4
	v_readlane_b32 s1, v62, 34
	s_waitcnt vmcnt(0)
	v_mul_hi_u32 v2, v1, v2
	v_mul_lo_u32 v3, v2, s0
	v_add_u32_e32 v5, 1, v2
	v_sub_u32_e32 v1, v1, v3
	v_cmp_le_u32_e32 vcc, s0, v1
	v_subrev_u32_e32 v3, s0, v1
	v_cndmask_b32_e32 v2, v2, v5, vcc
	v_cndmask_b32_e32 v1, v1, v3, vcc
	v_add_u32_e32 v3, 1, v2
	v_cmp_le_u32_e32 vcc, s0, v1
	v_cndmask_b32_e32 v1, v2, v3, vcc
	buffer_load_dword v3, off, s[96:99], 0 offset:264 ; 4-byte Folded Reload
	v_xor_b32_e32 v1, v1, v4
	v_sub_u32_e32 v1, v1, v4
	v_sub_u32_e32 v2, 0, v1
	v_max_i32_e32 v2, v1, v2
	v_readlane_b32 s0, v62, 33
	v_ashrrev_i32_e32 v6, 31, v1
	v_xor_b32_e32 v6, s1, v6
	v_mul_lo_u32 v4, v0, s16
	s_waitcnt vmcnt(0)
	v_mul_hi_u32 v3, v2, v3
	v_mul_lo_u32 v5, v3, s0
	v_add_u32_e32 v7, 1, v3
	v_sub_u32_e32 v2, v2, v5
	v_cmp_le_u32_e32 vcc, s0, v2
	v_subrev_u32_e32 v5, s0, v2
	v_cndmask_b32_e32 v3, v3, v7, vcc
	v_cndmask_b32_e32 v2, v2, v5, vcc
	v_add_u32_e32 v5, 1, v3
	v_cmp_le_u32_e32 vcc, s0, v2
	v_cndmask_b32_e32 v2, v3, v5, vcc
	buffer_load_dword v5, off, s[96:99], 0 offset:268 ; 4-byte Folded Reload
	s_nop 0
	buffer_store_dword v8, off, s[96:99], 0 offset:228 ; 4-byte Folded Spill
	s_nop 0
	buffer_store_dword v9, off, s[96:99], 0 offset:232 ; 4-byte Folded Spill
	v_xor_b32_e32 v2, v2, v6
	v_sub_u32_e32 v2, v2, v6
	v_sub_u32_e32 v3, 0, v2
	v_max_i32_e32 v3, v2, v3
	v_readlane_b32 s0, v62, 1
	v_readlane_b32 s0, v62, 0
	;; [unrolled: 1-line block ×3, first 2 shown]
	v_mul_lo_u32 v7, v2, s2
	v_readlane_b32 s2, v62, 15
	v_readlane_b32 s1, v62, 2
	v_readlane_b32 s3, v62, 4
	v_sub_u32_e32 v7, v1, v7
	v_sub_u32_e32 v10, v8, v4
	s_waitcnt vmcnt(2)
	v_mul_hi_u32 v5, v3, v5
	v_ashrrev_i32_e32 v8, 31, v2
	v_xor_b32_e32 v8, s2, v8
	v_mul_lo_u32 v4, v1, s3
	v_mul_lo_u32 v6, v5, s0
	v_sub_u32_e32 v3, v3, v6
	v_add_u32_e32 v6, 1, v5
	v_cmp_le_u32_e32 vcc, s0, v3
	v_cndmask_b32_e32 v5, v5, v6, vcc
	v_subrev_u32_e32 v6, s0, v3
	v_cndmask_b32_e32 v3, v3, v6, vcc
	v_add_u32_e32 v6, 1, v5
	v_cmp_le_u32_e32 vcc, s0, v3
	v_cndmask_b32_e32 v3, v5, v6, vcc
	v_xor_b32_e32 v3, v3, v8
	v_sub_u32_e32 v29, v3, v8
	v_mul_lo_u32 v3, v29, s1
	v_readlane_b32 s0, v62, 44
	v_readlane_b32 s1, v62, 45
	v_sub_u32_e32 v8, v0, v4
	s_and_b64 vcc, exec, s[0:1]
	v_sub_u32_e32 v58, v2, v3
	s_cbranch_vccnz .LBB23_60
; %bb.3:                                ;   in Loop: Header=BB23_2 Depth=1
	buffer_load_dword v18, off, s[96:99], 0 offset:272 ; 4-byte Folded Reload
	buffer_load_dword v13, off, s[96:99], 0 offset:276 ; 4-byte Folded Reload
	;; [unrolled: 1-line block ×3, first 2 shown]
	v_readlane_b32 s76, v62, 39
	v_readlane_b32 s79, v62, 42
	buffer_store_dword v7, off, s[96:99], 0 offset:244 ; 4-byte Folded Spill
	v_add_u32_e32 v7, s79, v7
	v_sub_u32_e32 v0, 0, v7
	v_max_i32_e32 v0, v7, v0
	v_readlane_b32 s0, v62, 13
	v_add_u32_e32 v9, s0, v8
	v_readlane_b32 s0, v62, 35
	buffer_store_dword v8, off, s[96:99], 0 offset:240 ; 4-byte Folded Spill
	v_readlane_b32 s1, v62, 14
	v_add_u32_e32 v5, s1, v10
	v_readlane_b32 s1, v62, 36
	v_ashrrev_i32_e32 v3, 31, v7
	v_readlane_b32 s54, v62, 37
	v_xor_b32_e32 v3, s54, v3
	buffer_store_dword v10, off, s[96:99], 0 offset:236 ; 4-byte Folded Spill
	v_readlane_b32 s2, v62, 38
	v_add_u32_e32 v11, -2, v9
	v_add_u32_e32 v12, -1, v9
	v_readlane_b32 s6, v62, 43
	v_add_u32_e32 v14, -2, v7
	v_ashrrev_i32_e32 v15, 31, v12
	v_xor_b32_e32 v15, s2, v15
	v_add_u32_e32 v17, -1, v7
	v_readlane_b32 s84, v62, 9
	v_readlane_b32 s86, v62, 11
	;; [unrolled: 1-line block ×6, first 2 shown]
                                        ; implicit-def: $vgpr63 : SGPR spill to VGPR lane
	buffer_store_dword v29, off, s[96:99], 0 offset:252 ; 4-byte Folded Spill
	v_mov_b32_e32 v61, 0
	s_waitcnt vmcnt(6)
	v_mul_hi_u32 v1, v0, v18
	v_mul_lo_u32 v2, v1, s0
	v_add_u32_e32 v4, 1, v1
	v_sub_u32_e32 v0, v0, v2
	v_cmp_le_u32_e32 vcc, s0, v0
	v_cndmask_b32_e32 v1, v1, v4, vcc
	v_sub_u32_e32 v4, 0, v9
	v_max_i32_e32 v4, v9, v4
	s_waitcnt vmcnt(5)
	v_mul_hi_u32 v8, v4, v13
	v_subrev_u32_e32 v2, s0, v0
	v_cndmask_b32_e32 v0, v0, v2, vcc
	v_add_u32_e32 v2, 1, v1
	v_cmp_le_u32_e32 vcc, s0, v0
	v_cndmask_b32_e32 v0, v1, v2, vcc
	v_mul_lo_u32 v1, v8, s1
	v_add_u32_e32 v2, 1, v8
	v_xor_b32_e32 v0, v0, v3
	v_sub_u32_e32 v6, v0, v3
	v_sub_u32_e32 v1, v4, v1
	v_cmp_le_u32_e32 vcc, s1, v1
	v_sub_u32_e32 v4, 0, v5
	v_cndmask_b32_e32 v2, v8, v2, vcc
	v_max_i32_e32 v8, v5, v4
	s_waitcnt vmcnt(4)
	v_mul_hi_u32 v10, v8, v20
	v_subrev_u32_e32 v3, s1, v1
	v_cndmask_b32_e32 v1, v1, v3, vcc
	v_add_u32_e32 v3, 1, v2
	v_cmp_le_u32_e32 vcc, s1, v1
	v_cndmask_b32_e32 v1, v2, v3, vcc
	v_mul_lo_u32 v2, v10, s33
	v_ashrrev_i32_e32 v0, 31, v9
	v_xor_b32_e32 v0, s2, v0
	v_xor_b32_e32 v1, v1, v0
	v_sub_u32_e32 v4, v1, v0
	v_sub_u32_e32 v1, v8, v2
	v_cmp_le_u32_e32 vcc, s33, v1
	v_subrev_u32_e32 v3, s33, v1
	v_cndmask_b32_e32 v1, v1, v3, vcc
	v_sub_u32_e32 v3, 2, v9
	v_max_i32_e32 v3, v11, v3
	v_mul_hi_u32 v8, v3, v13
	v_add_u32_e32 v2, 1, v10
	v_cndmask_b32_e32 v2, v10, v2, vcc
	v_add_u32_e32 v10, 1, v2
	v_cmp_le_u32_e32 vcc, s33, v1
	v_cndmask_b32_e32 v1, v2, v10, vcc
	v_mul_lo_u32 v2, v8, s1
	v_ashrrev_i32_e32 v0, 31, v5
	v_xor_b32_e32 v0, s6, v0
	v_xor_b32_e32 v1, v1, v0
	v_sub_u32_e32 v2, v3, v2
	v_add_u32_e32 v3, 1, v8
	v_cmp_le_u32_e32 vcc, s1, v2
	v_cndmask_b32_e32 v3, v8, v3, vcc
	v_subrev_u32_e32 v8, s1, v2
	v_cndmask_b32_e32 v2, v2, v8, vcc
	v_sub_u32_e32 v8, 1, v9
	v_max_i32_e32 v10, v12, v8
	v_mul_hi_u32 v13, v10, v13
	v_add_u32_e32 v8, 1, v3
	v_cmp_le_u32_e32 vcc, s1, v2
	v_cndmask_b32_e32 v2, v3, v8, vcc
	v_mul_lo_u32 v3, v13, s1
	v_sub_u32_e32 v1, v1, v0
	v_ashrrev_i32_e32 v0, 31, v11
	v_xor_b32_e32 v0, s2, v0
	v_xor_b32_e32 v2, v2, v0
	v_sub_u32_e32 v8, v2, v0
	v_sub_u32_e32 v0, v10, v3
	v_cmp_le_u32_e32 vcc, s1, v0
	v_subrev_u32_e32 v3, s1, v0
	v_cndmask_b32_e32 v0, v0, v3, vcc
	v_sub_u32_e32 v3, 2, v7
	v_add_u32_e32 v2, 1, v13
	v_max_i32_e32 v3, v14, v3
	v_cndmask_b32_e32 v2, v13, v2, vcc
	v_mul_hi_u32 v13, v3, v18
	v_add_u32_e32 v10, 1, v2
	v_cmp_le_u32_e32 vcc, s1, v0
	v_cndmask_b32_e32 v0, v2, v10, vcc
	v_mul_lo_u32 v16, v13, s0
	v_xor_b32_e32 v0, v0, v15
	v_sub_u32_e32 v10, v0, v15
	v_add_u32_e32 v2, 1, v13
	v_sub_u32_e32 v0, v3, v16
	v_sub_u32_e32 v3, 1, v7
	v_max_i32_e32 v3, v17, v3
	v_mul_hi_u32 v15, v3, v18
	v_cmp_le_u32_e32 vcc, s0, v0
	v_cndmask_b32_e32 v2, v13, v2, vcc
	v_subrev_u32_e32 v13, s0, v0
	v_cndmask_b32_e32 v0, v0, v13, vcc
	v_mul_lo_u32 v13, v15, s0
	v_add_u32_e32 v16, 1, v2
	v_cmp_le_u32_e32 vcc, s0, v0
	v_cndmask_b32_e32 v2, v2, v16, vcc
	v_sub_u32_e32 v0, v3, v13
	v_add_u32_e32 v3, 1, v15
	v_cmp_le_u32_e32 vcc, s0, v0
	v_subrev_u32_e32 v13, s0, v0
	v_cndmask_b32_e32 v3, v15, v3, vcc
	v_cndmask_b32_e32 v0, v0, v13, vcc
	v_add_u32_e32 v13, 1, v3
	v_cmp_le_u32_e32 vcc, s0, v0
	v_cndmask_b32_e32 v0, v3, v13, vcc
	v_add_u32_e32 v18, -1, v5
	v_sub_u32_e32 v13, 1, v5
	v_max_i32_e32 v13, v18, v13
	v_mul_hi_u32 v16, v13, v20
	v_ashrrev_i32_e32 v3, 31, v17
	v_xor_b32_e32 v3, s54, v3
	v_xor_b32_e32 v0, v0, v3
	v_sub_u32_e32 v15, v0, v3
	v_mul_lo_u32 v0, v16, s33
	v_or_b32_e32 v3, v1, v4
	v_or_b32_e32 v19, v3, v6
	v_cmp_lt_i32_e32 vcc, -1, v19
	v_sub_u32_e32 v0, v13, v0
	v_add_u32_e32 v13, 1, v16
	v_cmp_le_u32_e64 s[2:3], s33, v0
	v_cndmask_b32_e64 v13, v16, v13, s[2:3]
	v_subrev_u32_e32 v16, s33, v0
	v_cndmask_b32_e64 v0, v0, v16, s[2:3]
	v_cmp_le_u32_e64 s[2:3], s33, v0
	v_add_u32_e32 v0, -2, v5
	v_sub_u32_e32 v19, 2, v5
	v_max_i32_e32 v19, v0, v19
	v_add_u32_e32 v16, 1, v13
	v_mul_hi_u32 v20, v19, v20
	v_cndmask_b32_e64 v13, v13, v16, s[2:3]
	v_ashrrev_i32_e32 v16, 31, v18
	v_xor_b32_e32 v16, s6, v16
	v_xor_b32_e32 v13, v13, v16
	v_sub_u32_e32 v13, v13, v16
	v_mul_lo_u32 v16, v20, s33
	v_cmp_gt_i32_e64 s[30:31], s86, v4
	v_cmp_gt_i32_e64 s[34:35], s87, v1
	;; [unrolled: 1-line block ×3, first 2 shown]
	v_sub_u32_e32 v16, v19, v16
	v_add_u32_e32 v19, 1, v20
	v_cmp_le_u32_e64 s[4:5], s33, v16
	v_cndmask_b32_e64 v19, v20, v19, s[4:5]
	v_subrev_u32_e32 v20, s33, v16
	v_cndmask_b32_e64 v16, v16, v20, s[4:5]
	v_add_u32_e32 v20, 1, v19
	v_cmp_le_u32_e64 s[4:5], s33, v16
	v_cndmask_b32_e64 v16, v19, v20, s[4:5]
	v_ashrrev_i32_e32 v19, 31, v0
	v_xor_b32_e32 v19, s6, v19
	v_xor_b32_e32 v16, v16, v19
	v_sub_u32_e32 v16, v16, v19
	v_cmp_gt_i32_e64 s[38:39], s87, v16
	s_and_b64 s[52:53], s[34:35], s[30:31]
	s_and_b64 s[50:51], s[36:37], s[30:31]
	;; [unrolled: 1-line block ×3, first 2 shown]
	v_cmp_gt_i32_e64 s[30:31], s86, v10
	v_or_b32_e32 v22, v13, v4
	s_and_b64 s[46:47], s[34:35], s[30:31]
	s_and_b64 s[44:45], s[36:37], s[30:31]
	;; [unrolled: 1-line block ×3, first 2 shown]
	v_cmp_gt_i32_e64 s[30:31], s86, v8
	v_or_b32_e32 v21, v22, v6
	s_and_b64 s[40:41], s[34:35], s[30:31]
	s_and_b64 s[34:35], s[36:37], s[30:31]
	;; [unrolled: 1-line block ×3, first 2 shown]
	v_cmp_gt_i32_e64 s[30:31], s85, v6
	s_and_b64 s[36:37], s[52:53], vcc
	v_cmp_lt_i32_e64 s[2:3], -1, v21
	s_and_b64 s[36:37], s[36:37], s[30:31]
	v_or_b32_e32 v25, v16, v4
	v_writelane_b32 v62, s36, 50
	s_and_b64 s[2:3], s[50:51], s[2:3]
	v_or_b32_e32 v19, v25, v6
	v_writelane_b32 v62, s37, 51
	s_and_b64 s[2:3], s[2:3], s[30:31]
	v_cmp_lt_i32_e64 s[4:5], -1, v19
	v_writelane_b32 v62, s2, 52
	v_or_b32_e32 v23, v1, v10
	v_writelane_b32 v62, s3, 53
	s_and_b64 s[2:3], s[48:49], s[4:5]
	v_or_b32_e32 v19, v23, v6
	s_and_b64 s[2:3], s[2:3], s[30:31]
	v_cmp_lt_i32_e64 s[6:7], -1, v19
	v_writelane_b32 v62, s2, 54
	v_or_b32_e32 v26, v13, v10
	v_writelane_b32 v62, s3, 55
	s_and_b64 s[2:3], s[46:47], s[6:7]
	v_or_b32_e32 v19, v26, v6
	;; [unrolled: 7-line block ×6, first 2 shown]
	s_and_b64 s[2:3], s[2:3], s[30:31]
	v_cmp_lt_i32_e64 s[16:17], -1, v27
	v_writelane_b32 v63, s2, 0
	v_writelane_b32 v63, s3, 1
	s_and_b64 s[2:3], s[0:1], s[16:17]
	v_or_b32_e32 v27, v3, v15
	s_and_b64 s[2:3], s[2:3], s[30:31]
	v_cmp_lt_i32_e64 s[18:19], -1, v27
	v_or_b32_e32 v27, v22, v15
	v_writelane_b32 v63, s2, 2
	v_cmp_lt_i32_e64 s[20:21], -1, v27
	v_or_b32_e32 v27, v25, v15
	v_writelane_b32 v63, s3, 3
	v_cmp_gt_i32_e64 s[2:3], s85, v15
	s_and_b64 s[4:5], s[52:53], s[18:19]
	v_cmp_lt_i32_e64 s[22:23], -1, v27
	v_or_b32_e32 v27, v23, v15
	s_and_b64 s[58:59], s[4:5], s[2:3]
	s_and_b64 s[4:5], s[50:51], s[20:21]
	v_cmp_lt_i32_e64 s[24:25], -1, v27
	v_or_b32_e32 v27, v26, v15
	s_and_b64 s[60:61], s[4:5], s[2:3]
	;; [unrolled: 4-line block ×4, first 2 shown]
	s_and_b64 s[4:5], s[44:45], s[26:27]
	v_cmp_lt_i32_e32 vcc, -1, v27
	v_or_b32_e32 v27, v20, v15
	s_and_b64 s[74:75], s[4:5], s[2:3]
	s_and_b64 s[4:5], s[42:43], s[28:29]
	;; [unrolled: 1-line block ×3, first 2 shown]
	s_and_b64 s[4:5], s[40:41], vcc
	v_cmp_lt_i32_e32 vcc, -1, v27
	v_ashrrev_i32_e32 v27, 31, v14
	v_xor_b32_e32 v27, s54, v27
	v_xor_b32_e32 v2, v2, v27
	v_or_b32_e32 v28, v21, v15
	v_sub_u32_e32 v27, v2, v27
	s_and_b64 s[70:71], s[4:5], s[2:3]
	s_and_b64 s[4:5], s[34:35], vcc
	v_cmp_lt_i32_e32 vcc, -1, v28
	v_or_b32_e32 v2, v3, v27
	s_and_b64 s[88:89], s[4:5], s[2:3]
	s_and_b64 s[4:5], s[0:1], vcc
	v_cmp_lt_i32_e32 vcc, -1, v2
	v_or_b32_e32 v2, v22, v27
	v_readlane_b32 s84, v62, 16
	s_and_b64 s[8:9], s[52:53], vcc
	v_cmp_lt_i32_e32 vcc, -1, v2
	v_or_b32_e32 v2, v25, v27
	v_mul_lo_u32 v60, v58, s84
	s_and_b64 s[10:11], s[50:51], vcc
	v_cmp_lt_i32_e32 vcc, -1, v2
	v_or_b32_e32 v2, v23, v27
	s_and_b64 s[12:13], s[48:49], vcc
	v_cmp_lt_i32_e32 vcc, -1, v2
	v_or_b32_e32 v2, v26, v27
	s_and_b64 s[64:65], s[4:5], s[2:3]
	s_and_b64 s[14:15], s[46:47], vcc
	v_cmp_lt_i32_e32 vcc, -1, v2
	v_or_b32_e32 v2, v24, v27
	v_readlane_b32 s2, v62, 17
	s_and_b64 s[16:17], s[44:45], vcc
	v_cmp_lt_i32_e32 vcc, -1, v2
	v_mul_lo_u32 v2, s2, v60
	v_readlane_b32 s2, v62, 18
	v_mul_lo_u32 v22, s2, v29
	v_readlane_b32 s4, v62, 22
	v_ashrrev_i32_e32 v3, 31, v2
	v_lshlrev_b64 v[2:3], 1, v[2:3]
	v_readlane_b32 s5, v62, 23
	s_and_b64 s[18:19], s[42:43], vcc
	v_mov_b32_e32 v23, s5
	v_add_co_u32_e32 v2, vcc, s4, v2
	v_readlane_b32 s3, v62, 19
	v_addc_co_u32_e32 v3, vcc, v23, v3, vcc
	v_ashrrev_i32_e32 v23, 31, v22
	v_readlane_b32 s2, v62, 7
	v_mul_lo_u32 v25, v6, s76
	v_lshlrev_b64 v[22:23], 1, v[22:23]
	v_readlane_b32 s3, v62, 8
	v_mov_b32_e32 v24, s3
	v_mul_lo_u32 v26, v4, s77
	v_mul_lo_u32 v28, v10, s77
	v_mul_lo_u32 v29, v8, s77
	v_add_co_u32_e32 v22, vcc, s2, v22
	v_mul_lo_u32 v30, v15, s76
	s_mov_b64 s[28:29], s[76:77]
	buffer_store_dword v22, off, s[96:99], 0 ; 4-byte Folded Spill
	v_addc_co_u32_e32 v22, vcc, v24, v23, vcc
	v_cmp_eq_u32_e32 vcc, v25, v7
	v_mul_lo_u32 v7, v27, s28
	s_mov_b64 s[30:31], s[78:79]
	v_cmp_eq_u32_e64 s[2:3], v26, v9
	v_cmp_eq_u32_e64 s[4:5], v28, v12
	;; [unrolled: 1-line block ×3, first 2 shown]
	s_and_b64 s[20:21], vcc, s[2:3]
	s_and_b64 s[22:23], vcc, s[4:5]
	;; [unrolled: 1-line block ×3, first 2 shown]
	v_cmp_eq_u32_e32 vcc, v30, v17
	v_mul_lo_u32 v11, v16, s30
	s_and_b64 s[26:27], vcc, s[2:3]
	s_and_b64 s[28:29], vcc, s[4:5]
	s_and_b64 s[36:37], vcc, s[6:7]
	v_cmp_eq_u32_e32 vcc, v7, v14
	v_or_b32_e32 v7, v19, v27
	s_and_b64 s[42:43], vcc, s[2:3]
	s_and_b64 s[48:49], vcc, s[4:5]
	s_and_b64 s[56:57], vcc, s[6:7]
	v_cmp_lt_i32_e32 vcc, -1, v7
	v_or_b32_e32 v7, v20, v27
	s_and_b64 s[2:3], s[40:41], vcc
	v_cmp_lt_i32_e32 vcc, -1, v7
	v_or_b32_e32 v7, v21, v27
	s_and_b64 s[4:5], s[34:35], vcc
	v_cmp_lt_i32_e32 vcc, -1, v7
	v_mul_lo_u32 v7, v1, s30
	v_cmp_eq_u32_e64 s[54:55], v11, v0
	v_mul_lo_u32 v0, v6, s86
	v_mul_lo_u32 v9, v13, s30
	v_cmp_eq_u32_e64 s[50:51], v7, v5
	s_and_b64 s[6:7], s[0:1], vcc
	v_add_u32_e32 v5, v4, v0
	v_mul_lo_u32 v7, v5, s87
	v_cmp_eq_u32_e64 s[52:53], v9, v18
	v_add_u32_e32 v9, v10, v0
	v_add_u32_e32 v0, v8, v0
	v_add_u32_e32 v5, v1, v7
	v_add_u32_e32 v11, v13, v7
	v_add_u32_e32 v17, v16, v7
	v_mul_lo_u32 v0, v0, s87
	v_mul_lo_u32 v7, v15, s86
	;; [unrolled: 1-line block ×3, first 2 shown]
	v_cmp_gt_i32_e32 vcc, s85, v27
	v_add_u32_e32 v14, v1, v0
	v_add_u32_e32 v25, v13, v0
	;; [unrolled: 1-line block ×4, first 2 shown]
	v_mul_lo_u32 v0, v0, s87
	v_add_u32_e32 v19, v1, v9
	v_add_u32_e32 v21, v13, v9
	;; [unrolled: 1-line block ×6, first 2 shown]
	v_mul_lo_u32 v0, v27, s86
	v_add_u32_e32 v9, v4, v7
	v_add_u32_e32 v7, v8, v7
	v_mul_lo_u32 v7, v7, s87
	v_add_u32_e32 v4, v4, v0
	v_mul_lo_u32 v4, v4, s87
	v_mul_lo_u32 v9, v9, s87
	v_add_u32_e32 v42, v1, v7
	v_add_u32_e32 v44, v13, v7
	;; [unrolled: 1-line block ×7, first 2 shown]
	v_mul_lo_u32 v27, v7, s87
	v_add_u32_e32 v7, v16, v4
	v_mul_lo_u32 v4, v0, s87
	v_ashrrev_i32_e32 v6, 31, v5
	v_add_u32_e32 v32, v13, v9
	v_add_u32_e32 v52, v13, v27
	;; [unrolled: 1-line block ×4, first 2 shown]
	v_mov_b32_e32 v13, v58
	v_add_u32_e32 v58, v16, v4
	v_lshlrev_b64 v[4:5], 1, v[5:6]
	buffer_store_dword v22, off, s[96:99], 0 offset:4 ; 4-byte Folded Spill
	v_ashrrev_i32_e32 v12, 31, v11
	buffer_store_dword v4, off, s[96:99], 0 offset:12 ; 4-byte Folded Spill
	s_nop 0
	buffer_store_dword v5, off, s[96:99], 0 offset:16 ; 4-byte Folded Spill
	v_lshlrev_b64 v[4:5], 1, v[11:12]
	v_ashrrev_i32_e32 v18, 31, v17
	buffer_store_dword v4, off, s[96:99], 0 offset:20 ; 4-byte Folded Spill
	s_nop 0
	buffer_store_dword v5, off, s[96:99], 0 offset:24 ; 4-byte Folded Spill
	v_lshlrev_b64 v[4:5], 1, v[17:18]
	;; [unrolled: 5-line block ×8, first 2 shown]
	v_add_u32_e32 v30, v1, v9
	v_ashrrev_i32_e32 v31, 31, v30
	buffer_store_dword v4, off, s[96:99], 0 offset:76 ; 4-byte Folded Spill
	s_nop 0
	buffer_store_dword v5, off, s[96:99], 0 offset:80 ; 4-byte Folded Spill
	v_lshlrev_b64 v[4:5], 1, v[30:31]
	v_ashrrev_i32_e32 v33, 31, v32
	buffer_store_dword v4, off, s[96:99], 0 offset:84 ; 4-byte Folded Spill
	s_nop 0
	buffer_store_dword v5, off, s[96:99], 0 offset:88 ; 4-byte Folded Spill
	v_lshlrev_b64 v[4:5], 1, v[32:33]
	v_add_u32_e32 v34, v16, v9
	v_ashrrev_i32_e32 v35, 31, v34
	buffer_store_dword v4, off, s[96:99], 0 offset:92 ; 4-byte Folded Spill
	s_nop 0
	buffer_store_dword v5, off, s[96:99], 0 offset:96 ; 4-byte Folded Spill
	v_lshlrev_b64 v[4:5], 1, v[34:35]
	v_ashrrev_i32_e32 v37, 31, v36
	buffer_store_dword v4, off, s[96:99], 0 offset:100 ; 4-byte Folded Spill
	s_nop 0
	buffer_store_dword v5, off, s[96:99], 0 offset:104 ; 4-byte Folded Spill
	v_lshlrev_b64 v[4:5], 1, v[36:37]
	;; [unrolled: 5-line block ×10, first 2 shown]
	v_add_u32_e32 v9, v1, v27
	v_ashrrev_i32_e32 v10, 31, v9
	buffer_store_dword v4, off, s[96:99], 0 offset:172 ; 4-byte Folded Spill
	s_nop 0
	buffer_store_dword v5, off, s[96:99], 0 offset:176 ; 4-byte Folded Spill
	v_lshlrev_b64 v[4:5], 1, v[9:10]
	v_ashrrev_i32_e32 v53, 31, v52
	buffer_store_dword v4, off, s[96:99], 0 offset:180 ; 4-byte Folded Spill
	s_nop 0
	buffer_store_dword v5, off, s[96:99], 0 offset:184 ; 4-byte Folded Spill
	v_lshlrev_b64 v[4:5], 1, v[52:53]
	v_add_u32_e32 v54, v16, v27
	v_ashrrev_i32_e32 v55, 31, v54
	v_ashrrev_i32_e32 v1, 31, v0
	buffer_store_dword v4, off, s[96:99], 0 offset:188 ; 4-byte Folded Spill
	s_nop 0
	buffer_store_dword v5, off, s[96:99], 0 offset:192 ; 4-byte Folded Spill
	v_lshlrev_b64 v[4:5], 1, v[54:55]
	v_lshlrev_b64 v[0:1], 1, v[0:1]
	v_ashrrev_i32_e32 v57, 31, v56
	buffer_store_dword v4, off, s[96:99], 0 offset:196 ; 4-byte Folded Spill
	s_nop 0
	buffer_store_dword v5, off, s[96:99], 0 offset:200 ; 4-byte Folded Spill
	buffer_store_dword v0, off, s[96:99], 0 offset:204 ; 4-byte Folded Spill
	s_nop 0
	buffer_store_dword v1, off, s[96:99], 0 offset:208 ; 4-byte Folded Spill
	s_and_b64 s[66:67], s[8:9], vcc
	s_and_b64 s[82:83], s[10:11], vcc
	;; [unrolled: 1-line block ×9, first 2 shown]
	s_and_b64 vcc, s[20:21], s[50:51]
	s_and_b64 s[2:3], s[20:21], s[52:53]
	s_and_b64 s[4:5], s[20:21], s[54:55]
	;; [unrolled: 1-line block ×26, first 2 shown]
	v_lshlrev_b64 v[0:1], 1, v[56:57]
	v_readlane_b32 s56, v62, 18
	v_readlane_b32 s57, v62, 19
	v_ashrrev_i32_e32 v59, 31, v58
	buffer_store_dword v0, off, s[96:99], 0 offset:212 ; 4-byte Folded Spill
	s_nop 0
	buffer_store_dword v1, off, s[96:99], 0 offset:216 ; 4-byte Folded Spill
	s_mul_i32 s56, s57, s84
	v_lshlrev_b64 v[0:1], 1, v[58:59]
	v_mul_lo_u32 v58, s56, v13
	buffer_store_dword v0, off, s[96:99], 0 offset:220 ; 4-byte Folded Spill
	s_nop 0
	buffer_store_dword v1, off, s[96:99], 0 offset:224 ; 4-byte Folded Spill
	s_mov_b64 s[86:87], 0
	v_add_u32_e32 v1, s84, v60
	buffer_store_dword v13, off, s[96:99], 0 offset:248 ; 4-byte Folded Spill
	s_branch .LBB23_5
.LBB23_4:                               ;   in Loop: Header=BB23_5 Depth=2
	s_or_b64 exec, exec, s[84:85]
	v_fma_mix_f32 v0, v59, v0, v61 op_sel_hi:[0,1,0]
	v_cndmask_b32_e32 v0, v61, v0, vcc
	s_waitcnt vmcnt(25)
	v_fma_mix_f32 v4, v8, v6, v0 op_sel_hi:[0,1,0]
	v_cndmask_b32_e64 v0, v0, v4, s[2:3]
	s_waitcnt vmcnt(24)
	v_fma_mix_f32 v4, v7, v9, v0 op_sel_hi:[0,1,0]
	v_cndmask_b32_e64 v0, v0, v4, s[4:5]
	;; [unrolled: 3-line block ×23, first 2 shown]
	v_fma_mix_f32 v4, v51, v53, v0 op_sel_hi:[0,1,0]
	v_add_co_u32_e64 v2, s[56:57], 54, v2
	v_cndmask_b32_e64 v0, v0, v4, s[50:51]
	v_addc_co_u32_e64 v3, s[56:57], 0, v3, s[56:57]
	v_add_u32_e32 v60, 1, v60
	v_fma_mix_f32 v4, v56, v54, v0 op_sel_hi:[0,1,0]
	v_cmp_ge_i32_e64 s[56:57], v60, v1
	v_cndmask_b32_e64 v0, v0, v4, s[52:53]
	s_or_b64 s[86:87], s[56:57], s[86:87]
	v_readlane_b32 s56, v62, 18
	v_fma_mix_f32 v4, v55, v57, v0 op_sel_hi:[0,1,0]
	v_readlane_b32 s57, v62, 19
	v_cndmask_b32_e64 v61, v0, v4, s[54:55]
	v_add_u32_e32 v58, s57, v58
	s_andn2_b64 exec, exec, s[86:87]
	s_cbranch_execz .LBB23_59
.LBB23_5:                               ;   Parent Loop BB23_2 Depth=1
                                        ; =>  This Inner Loop Header: Depth=2
	buffer_load_dword v6, off, s[96:99], 0  ; 4-byte Folded Reload
	v_ashrrev_i32_e32 v59, 31, v58
	v_lshlrev_b64 v[4:5], 1, v[58:59]
	global_load_ushort v0, v[2:3], off
	v_mov_b32_e32 v59, 0
	s_waitcnt vmcnt(1)
	v_add_co_u32_e64 v4, s[56:57], v6, v4
	buffer_load_dword v6, off, s[96:99], 0 offset:4 ; 4-byte Folded Reload
	s_waitcnt vmcnt(0)
	v_addc_co_u32_e64 v5, s[56:57], v6, v5, s[56:57]
	s_mov_b64 s[84:85], exec
	v_readlane_b32 s56, v62, 50
	v_readlane_b32 s57, v62, 51
	s_and_b64 s[56:57], s[84:85], s[56:57]
	s_mov_b64 exec, s[56:57]
	s_cbranch_execz .LBB23_7
; %bb.6:                                ;   in Loop: Header=BB23_5 Depth=2
	buffer_load_dword v6, off, s[96:99], 0 offset:12 ; 4-byte Folded Reload
	buffer_load_dword v7, off, s[96:99], 0 offset:16 ; 4-byte Folded Reload
	s_waitcnt vmcnt(1)
	v_add_co_u32_e64 v6, s[56:57], v4, v6
	s_waitcnt vmcnt(0)
	v_addc_co_u32_e64 v7, s[56:57], v5, v7, s[56:57]
	global_load_ushort v6, v[6:7], off
	s_waitcnt vmcnt(0)
	v_cvt_f32_f16_e32 v59, v6
.LBB23_7:                               ;   in Loop: Header=BB23_5 Depth=2
	s_or_b64 exec, exec, s[84:85]
	global_load_ushort v6, v[2:3], off offset:2
	v_mov_b32_e32 v7, 0
	v_mov_b32_e32 v8, 0
	s_mov_b64 s[84:85], exec
	v_readlane_b32 s56, v62, 52
	v_readlane_b32 s57, v62, 53
	s_and_b64 s[56:57], s[84:85], s[56:57]
	s_mov_b64 exec, s[56:57]
	s_cbranch_execz .LBB23_9
; %bb.8:                                ;   in Loop: Header=BB23_5 Depth=2
	buffer_load_dword v8, off, s[96:99], 0 offset:20 ; 4-byte Folded Reload
	buffer_load_dword v9, off, s[96:99], 0 offset:24 ; 4-byte Folded Reload
	s_waitcnt vmcnt(1)
	v_add_co_u32_e64 v8, s[56:57], v4, v8
	s_waitcnt vmcnt(0)
	v_addc_co_u32_e64 v9, s[56:57], v5, v9, s[56:57]
	global_load_ushort v8, v[8:9], off
	s_waitcnt vmcnt(0)
	v_cvt_f32_f16_e32 v8, v8
.LBB23_9:                               ;   in Loop: Header=BB23_5 Depth=2
	s_or_b64 exec, exec, s[84:85]
	global_load_ushort v9, v[2:3], off offset:4
	s_mov_b64 s[84:85], exec
	v_readlane_b32 s56, v62, 54
	v_readlane_b32 s57, v62, 55
	s_and_b64 s[56:57], s[84:85], s[56:57]
	s_mov_b64 exec, s[56:57]
	s_cbranch_execz .LBB23_11
; %bb.10:                               ;   in Loop: Header=BB23_5 Depth=2
	buffer_load_dword v10, off, s[96:99], 0 offset:28 ; 4-byte Folded Reload
	buffer_load_dword v11, off, s[96:99], 0 offset:32 ; 4-byte Folded Reload
	s_waitcnt vmcnt(1)
	v_add_co_u32_e64 v10, s[56:57], v4, v10
	s_waitcnt vmcnt(0)
	v_addc_co_u32_e64 v11, s[56:57], v5, v11, s[56:57]
	global_load_ushort v7, v[10:11], off
	s_waitcnt vmcnt(0)
	v_cvt_f32_f16_e32 v7, v7
.LBB23_11:                              ;   in Loop: Header=BB23_5 Depth=2
	s_or_b64 exec, exec, s[84:85]
	global_load_ushort v10, v[2:3], off offset:6
	v_mov_b32_e32 v11, 0
	v_mov_b32_e32 v12, 0
	s_mov_b64 s[84:85], exec
	v_readlane_b32 s56, v62, 56
	v_readlane_b32 s57, v62, 57
	s_and_b64 s[56:57], s[84:85], s[56:57]
	s_mov_b64 exec, s[56:57]
	s_cbranch_execz .LBB23_13
; %bb.12:                               ;   in Loop: Header=BB23_5 Depth=2
	buffer_load_dword v12, off, s[96:99], 0 offset:36 ; 4-byte Folded Reload
	buffer_load_dword v13, off, s[96:99], 0 offset:40 ; 4-byte Folded Reload
	s_waitcnt vmcnt(1)
	v_add_co_u32_e64 v12, s[56:57], v4, v12
	s_waitcnt vmcnt(0)
	v_addc_co_u32_e64 v13, s[56:57], v5, v13, s[56:57]
	global_load_ushort v12, v[12:13], off
	s_waitcnt vmcnt(0)
	v_cvt_f32_f16_e32 v12, v12
.LBB23_13:                              ;   in Loop: Header=BB23_5 Depth=2
	s_or_b64 exec, exec, s[84:85]
	global_load_ushort v13, v[2:3], off offset:8
	s_mov_b64 s[84:85], exec
	v_readlane_b32 s56, v62, 58
	v_readlane_b32 s57, v62, 59
	s_and_b64 s[56:57], s[84:85], s[56:57]
	s_mov_b64 exec, s[56:57]
	s_cbranch_execz .LBB23_15
; %bb.14:                               ;   in Loop: Header=BB23_5 Depth=2
	buffer_load_dword v14, off, s[96:99], 0 offset:44 ; 4-byte Folded Reload
	buffer_load_dword v15, off, s[96:99], 0 offset:48 ; 4-byte Folded Reload
	s_waitcnt vmcnt(1)
	v_add_co_u32_e64 v14, s[56:57], v4, v14
	s_waitcnt vmcnt(0)
	v_addc_co_u32_e64 v15, s[56:57], v5, v15, s[56:57]
	global_load_ushort v11, v[14:15], off
	s_waitcnt vmcnt(0)
	v_cvt_f32_f16_e32 v11, v11
.LBB23_15:                              ;   in Loop: Header=BB23_5 Depth=2
	s_or_b64 exec, exec, s[84:85]
	global_load_ushort v14, v[2:3], off offset:10
	v_mov_b32_e32 v15, 0
	v_mov_b32_e32 v16, 0
	s_mov_b64 s[84:85], exec
	v_readlane_b32 s56, v62, 60
	v_readlane_b32 s57, v62, 61
	s_and_b64 s[56:57], s[84:85], s[56:57]
	s_mov_b64 exec, s[56:57]
	s_cbranch_execz .LBB23_17
; %bb.16:                               ;   in Loop: Header=BB23_5 Depth=2
	buffer_load_dword v16, off, s[96:99], 0 offset:52 ; 4-byte Folded Reload
	buffer_load_dword v17, off, s[96:99], 0 offset:56 ; 4-byte Folded Reload
	s_waitcnt vmcnt(1)
	v_add_co_u32_e64 v16, s[56:57], v4, v16
	s_waitcnt vmcnt(0)
	v_addc_co_u32_e64 v17, s[56:57], v5, v17, s[56:57]
	global_load_ushort v16, v[16:17], off
	s_waitcnt vmcnt(0)
	v_cvt_f32_f16_e32 v16, v16
.LBB23_17:                              ;   in Loop: Header=BB23_5 Depth=2
	;; [unrolled: 40-line block ×3, first 2 shown]
	s_or_b64 exec, exec, s[84:85]
	global_load_ushort v21, v[2:3], off offset:16
	s_mov_b64 s[84:85], exec
	v_readlane_b32 s56, v63, 2
	v_readlane_b32 s57, v63, 3
	s_and_b64 s[56:57], s[84:85], s[56:57]
	s_mov_b64 exec, s[56:57]
	s_cbranch_execz .LBB23_23
; %bb.22:                               ;   in Loop: Header=BB23_5 Depth=2
	buffer_load_dword v22, off, s[96:99], 0 offset:76 ; 4-byte Folded Reload
	buffer_load_dword v23, off, s[96:99], 0 offset:80 ; 4-byte Folded Reload
	s_waitcnt vmcnt(1)
	v_add_co_u32_e64 v22, s[56:57], v4, v22
	s_waitcnt vmcnt(0)
	v_addc_co_u32_e64 v23, s[56:57], v5, v23, s[56:57]
	global_load_ushort v19, v[22:23], off
	s_waitcnt vmcnt(0)
	v_cvt_f32_f16_e32 v19, v19
.LBB23_23:                              ;   in Loop: Header=BB23_5 Depth=2
	s_or_b64 exec, exec, s[84:85]
	global_load_ushort v22, v[2:3], off offset:18
	v_mov_b32_e32 v23, 0
	v_mov_b32_e32 v24, 0
	s_and_saveexec_b64 s[84:85], s[58:59]
	s_cbranch_execz .LBB23_25
; %bb.24:                               ;   in Loop: Header=BB23_5 Depth=2
	buffer_load_dword v24, off, s[96:99], 0 offset:84 ; 4-byte Folded Reload
	buffer_load_dword v25, off, s[96:99], 0 offset:88 ; 4-byte Folded Reload
	s_waitcnt vmcnt(1)
	v_add_co_u32_e64 v24, s[56:57], v4, v24
	s_waitcnt vmcnt(0)
	v_addc_co_u32_e64 v25, s[56:57], v5, v25, s[56:57]
	global_load_ushort v24, v[24:25], off
	s_waitcnt vmcnt(0)
	v_cvt_f32_f16_e32 v24, v24
.LBB23_25:                              ;   in Loop: Header=BB23_5 Depth=2
	s_or_b64 exec, exec, s[84:85]
	global_load_ushort v25, v[2:3], off offset:20
	s_and_saveexec_b64 s[84:85], s[60:61]
	s_cbranch_execz .LBB23_27
; %bb.26:                               ;   in Loop: Header=BB23_5 Depth=2
	buffer_load_dword v26, off, s[96:99], 0 offset:92 ; 4-byte Folded Reload
	buffer_load_dword v27, off, s[96:99], 0 offset:96 ; 4-byte Folded Reload
	s_waitcnt vmcnt(1)
	v_add_co_u32_e64 v26, s[56:57], v4, v26
	s_waitcnt vmcnt(0)
	v_addc_co_u32_e64 v27, s[56:57], v5, v27, s[56:57]
	global_load_ushort v23, v[26:27], off
	s_waitcnt vmcnt(0)
	v_cvt_f32_f16_e32 v23, v23
.LBB23_27:                              ;   in Loop: Header=BB23_5 Depth=2
	s_or_b64 exec, exec, s[84:85]
	global_load_ushort v26, v[2:3], off offset:22
	v_mov_b32_e32 v27, 0
	v_mov_b32_e32 v28, 0
	s_and_saveexec_b64 s[84:85], s[62:63]
	s_cbranch_execz .LBB23_29
; %bb.28:                               ;   in Loop: Header=BB23_5 Depth=2
	buffer_load_dword v28, off, s[96:99], 0 offset:100 ; 4-byte Folded Reload
	buffer_load_dword v29, off, s[96:99], 0 offset:104 ; 4-byte Folded Reload
	s_waitcnt vmcnt(1)
	v_add_co_u32_e64 v28, s[56:57], v4, v28
	s_waitcnt vmcnt(0)
	v_addc_co_u32_e64 v29, s[56:57], v5, v29, s[56:57]
	global_load_ushort v28, v[28:29], off
	s_waitcnt vmcnt(0)
	v_cvt_f32_f16_e32 v28, v28
.LBB23_29:                              ;   in Loop: Header=BB23_5 Depth=2
	s_or_b64 exec, exec, s[84:85]
	global_load_ushort v29, v[2:3], off offset:24
	s_and_saveexec_b64 s[84:85], s[72:73]
	;; [unrolled: 32-line block ×9, first 2 shown]
	s_cbranch_execz .LBB23_4
; %bb.58:                               ;   in Loop: Header=BB23_5 Depth=2
	s_waitcnt vmcnt(3)
	buffer_store_dword v50, off, s[96:99], 0 offset:8 ; 4-byte Folded Spill
	v_mov_b32_e32 v55, v1
	v_mov_b32_e32 v50, v49
	;; [unrolled: 1-line block ×47, first 2 shown]
	buffer_load_dword v0, off, s[96:99], 0 offset:220 ; 4-byte Folded Reload
	buffer_load_dword v1, off, s[96:99], 0 offset:224 ; 4-byte Folded Reload
	s_waitcnt vmcnt(1)
	v_add_co_u32_e64 v4, s[56:57], v4, v0
	s_waitcnt vmcnt(0)
	v_addc_co_u32_e64 v5, s[56:57], v5, v1, s[56:57]
	global_load_ushort v4, v[4:5], off
	v_mov_b32_e32 v0, v6
	v_mov_b32_e32 v6, v9
	;; [unrolled: 1-line block ×46, first 2 shown]
	buffer_load_dword v50, off, s[96:99], 0 offset:8 ; 4-byte Folded Reload
	v_mov_b32_e32 v1, v55
	s_waitcnt vmcnt(1)
	v_cvt_f32_f16_e32 v55, v4
	s_branch .LBB23_4
.LBB23_59:                              ;   in Loop: Header=BB23_2 Depth=1
	s_or_b64 exec, exec, s[86:87]
	buffer_load_dword v10, off, s[96:99], 0 offset:236 ; 4-byte Folded Reload
	buffer_load_dword v8, off, s[96:99], 0 offset:240 ; 4-byte Folded Reload
	buffer_load_dword v7, off, s[96:99], 0 offset:244 ; 4-byte Folded Reload
	buffer_load_dword v58, off, s[96:99], 0 offset:248 ; 4-byte Folded Reload
	buffer_load_dword v29, off, s[96:99], 0 offset:252 ; 4-byte Folded Reload
	v_cvt_f16_f32_e32 v0, v61
	v_readlane_b32 s16, v62, 46
	v_readlane_b32 s17, v62, 47
	s_branch .LBB23_61
.LBB23_60:                              ;   in Loop: Header=BB23_2 Depth=1
	v_mov_b32_e32 v0, 0
.LBB23_61:                              ;   in Loop: Header=BB23_2 Depth=1
	v_readlane_b32 s8, v62, 48
	v_readlane_b32 s9, v62, 49
; %bb.62:                               ;   in Loop: Header=BB23_2 Depth=1
	s_waitcnt vmcnt(0)
	v_mul_lo_u32 v1, v29, s17
	v_readlane_b32 s4, v62, 24
	v_mul_lo_u32 v3, s4, v58
	v_readlane_b32 s0, v62, 20
	v_ashrrev_i32_e32 v2, 31, v1
	v_lshlrev_b64 v[1:2], 1, v[1:2]
	v_readlane_b32 s1, v62, 21
	v_mov_b32_e32 v4, s1
	v_add_co_u32_e32 v5, vcc, s0, v1
	v_readlane_b32 s5, v62, 25
	v_addc_co_u32_e32 v6, vcc, v4, v2, vcc
	v_ashrrev_i32_e32 v4, 31, v3
	v_lshlrev_b64 v[1:2], 1, v[3:4]
	v_mul_lo_u32 v3, s5, v7
	v_readlane_b32 s6, v62, 26
	v_add_co_u32_e32 v5, vcc, v5, v1
	v_ashrrev_i32_e32 v4, 31, v3
	v_addc_co_u32_e32 v6, vcc, v6, v2, vcc
	v_lshlrev_b64 v[1:2], 1, v[3:4]
	v_mul_lo_u32 v3, s6, v8
	v_readlane_b32 s7, v62, 27
	v_add_co_u32_e32 v5, vcc, v5, v1
	v_ashrrev_i32_e32 v4, 31, v3
	v_addc_co_u32_e32 v6, vcc, v6, v2, vcc
	v_lshlrev_b64 v[1:2], 1, v[3:4]
	v_mul_lo_u32 v3, s7, v10
	v_add_co_u32_e32 v5, vcc, v5, v1
	v_addc_co_u32_e32 v6, vcc, v6, v2, vcc
	v_ashrrev_i32_e32 v4, 31, v3
	v_lshlrev_b64 v[1:2], 1, v[3:4]
	buffer_load_dword v3, off, s[96:99], 0 offset:228 ; 4-byte Folded Reload
	buffer_load_dword v4, off, s[96:99], 0 offset:232 ; 4-byte Folded Reload
	v_readlane_b32 s0, v62, 28
	v_add_co_u32_e64 v1, s[2:3], v5, v1
	v_addc_co_u32_e64 v2, s[2:3], v6, v2, s[2:3]
	global_store_short v[1:2], v0, off
	s_waitcnt vmcnt(2)
	v_add_co_u32_e32 v3, vcc, s0, v3
	v_readlane_b32 s0, v62, 5
	s_waitcnt vmcnt(1)
	v_addc_co_u32_e32 v4, vcc, 0, v4, vcc
	v_readlane_b32 s1, v62, 6
	v_cmp_le_i64_e32 vcc, s[0:1], v[3:4]
	s_or_b64 s[8:9], vcc, s[8:9]
	s_andn2_b64 exec, exec, s[8:9]
	s_cbranch_execnz .LBB23_2
.LBB23_63:
	s_endpgm
	.section	.rodata,"a",@progbits
	.p2align	6, 0x0
	.amdhsa_kernel _ZN2at6native12_GLOBAL__N_143conv_depthwise3d_cuda_backward_input_kernelIN3c104HalfEfLi3ELi3ELi3ELi1ELi1ELi1ELin1ELin1ELin1EEEvN5torch10headeronly6detail27GenericPackedTensorAccessorINS7_14TensorAccessorINS3_8ArrayRefIlEEKT_Lm4ENS6_16DefaultPtrTraitsEiEENS_6detail16IndexBoundsCheckILm5EiEESD_Lm5ESE_iEENS8_INS9_ISB_SC_Lm4ESE_iEESI_SC_Lm5ESE_iEESJ_iiiiiiiii
		.amdhsa_group_segment_fixed_size 0
		.amdhsa_private_segment_fixed_size 288
		.amdhsa_kernarg_size 440
		.amdhsa_user_sgpr_count 6
		.amdhsa_user_sgpr_private_segment_buffer 1
		.amdhsa_user_sgpr_dispatch_ptr 0
		.amdhsa_user_sgpr_queue_ptr 0
		.amdhsa_user_sgpr_kernarg_segment_ptr 1
		.amdhsa_user_sgpr_dispatch_id 0
		.amdhsa_user_sgpr_flat_scratch_init 0
		.amdhsa_user_sgpr_private_segment_size 0
		.amdhsa_uses_dynamic_stack 0
		.amdhsa_system_sgpr_private_segment_wavefront_offset 1
		.amdhsa_system_sgpr_workgroup_id_x 1
		.amdhsa_system_sgpr_workgroup_id_y 0
		.amdhsa_system_sgpr_workgroup_id_z 0
		.amdhsa_system_sgpr_workgroup_info 0
		.amdhsa_system_vgpr_workitem_id 0
		.amdhsa_next_free_vgpr 64
		.amdhsa_next_free_sgpr 100
		.amdhsa_reserve_vcc 1
		.amdhsa_reserve_flat_scratch 0
		.amdhsa_float_round_mode_32 0
		.amdhsa_float_round_mode_16_64 0
		.amdhsa_float_denorm_mode_32 3
		.amdhsa_float_denorm_mode_16_64 3
		.amdhsa_dx10_clamp 1
		.amdhsa_ieee_mode 1
		.amdhsa_fp16_overflow 0
		.amdhsa_exception_fp_ieee_invalid_op 0
		.amdhsa_exception_fp_denorm_src 0
		.amdhsa_exception_fp_ieee_div_zero 0
		.amdhsa_exception_fp_ieee_overflow 0
		.amdhsa_exception_fp_ieee_underflow 0
		.amdhsa_exception_fp_ieee_inexact 0
		.amdhsa_exception_int_div_zero 0
	.end_amdhsa_kernel
	.section	.text._ZN2at6native12_GLOBAL__N_143conv_depthwise3d_cuda_backward_input_kernelIN3c104HalfEfLi3ELi3ELi3ELi1ELi1ELi1ELin1ELin1ELin1EEEvN5torch10headeronly6detail27GenericPackedTensorAccessorINS7_14TensorAccessorINS3_8ArrayRefIlEEKT_Lm4ENS6_16DefaultPtrTraitsEiEENS_6detail16IndexBoundsCheckILm5EiEESD_Lm5ESE_iEENS8_INS9_ISB_SC_Lm4ESE_iEESI_SC_Lm5ESE_iEESJ_iiiiiiiii,"axG",@progbits,_ZN2at6native12_GLOBAL__N_143conv_depthwise3d_cuda_backward_input_kernelIN3c104HalfEfLi3ELi3ELi3ELi1ELi1ELi1ELin1ELin1ELin1EEEvN5torch10headeronly6detail27GenericPackedTensorAccessorINS7_14TensorAccessorINS3_8ArrayRefIlEEKT_Lm4ENS6_16DefaultPtrTraitsEiEENS_6detail16IndexBoundsCheckILm5EiEESD_Lm5ESE_iEENS8_INS9_ISB_SC_Lm4ESE_iEESI_SC_Lm5ESE_iEESJ_iiiiiiiii,comdat
.Lfunc_end23:
	.size	_ZN2at6native12_GLOBAL__N_143conv_depthwise3d_cuda_backward_input_kernelIN3c104HalfEfLi3ELi3ELi3ELi1ELi1ELi1ELin1ELin1ELin1EEEvN5torch10headeronly6detail27GenericPackedTensorAccessorINS7_14TensorAccessorINS3_8ArrayRefIlEEKT_Lm4ENS6_16DefaultPtrTraitsEiEENS_6detail16IndexBoundsCheckILm5EiEESD_Lm5ESE_iEENS8_INS9_ISB_SC_Lm4ESE_iEESI_SC_Lm5ESE_iEESJ_iiiiiiiii, .Lfunc_end23-_ZN2at6native12_GLOBAL__N_143conv_depthwise3d_cuda_backward_input_kernelIN3c104HalfEfLi3ELi3ELi3ELi1ELi1ELi1ELin1ELin1ELin1EEEvN5torch10headeronly6detail27GenericPackedTensorAccessorINS7_14TensorAccessorINS3_8ArrayRefIlEEKT_Lm4ENS6_16DefaultPtrTraitsEiEENS_6detail16IndexBoundsCheckILm5EiEESD_Lm5ESE_iEENS8_INS9_ISB_SC_Lm4ESE_iEESI_SC_Lm5ESE_iEESJ_iiiiiiiii
                                        ; -- End function
	.set _ZN2at6native12_GLOBAL__N_143conv_depthwise3d_cuda_backward_input_kernelIN3c104HalfEfLi3ELi3ELi3ELi1ELi1ELi1ELin1ELin1ELin1EEEvN5torch10headeronly6detail27GenericPackedTensorAccessorINS7_14TensorAccessorINS3_8ArrayRefIlEEKT_Lm4ENS6_16DefaultPtrTraitsEiEENS_6detail16IndexBoundsCheckILm5EiEESD_Lm5ESE_iEENS8_INS9_ISB_SC_Lm4ESE_iEESI_SC_Lm5ESE_iEESJ_iiiiiiiii.num_vgpr, 64
	.set _ZN2at6native12_GLOBAL__N_143conv_depthwise3d_cuda_backward_input_kernelIN3c104HalfEfLi3ELi3ELi3ELi1ELi1ELi1ELin1ELin1ELin1EEEvN5torch10headeronly6detail27GenericPackedTensorAccessorINS7_14TensorAccessorINS3_8ArrayRefIlEEKT_Lm4ENS6_16DefaultPtrTraitsEiEENS_6detail16IndexBoundsCheckILm5EiEESD_Lm5ESE_iEENS8_INS9_ISB_SC_Lm4ESE_iEESI_SC_Lm5ESE_iEESJ_iiiiiiiii.num_agpr, 0
	.set _ZN2at6native12_GLOBAL__N_143conv_depthwise3d_cuda_backward_input_kernelIN3c104HalfEfLi3ELi3ELi3ELi1ELi1ELi1ELin1ELin1ELin1EEEvN5torch10headeronly6detail27GenericPackedTensorAccessorINS7_14TensorAccessorINS3_8ArrayRefIlEEKT_Lm4ENS6_16DefaultPtrTraitsEiEENS_6detail16IndexBoundsCheckILm5EiEESD_Lm5ESE_iEENS8_INS9_ISB_SC_Lm4ESE_iEESI_SC_Lm5ESE_iEESJ_iiiiiiiii.numbered_sgpr, 100
	.set _ZN2at6native12_GLOBAL__N_143conv_depthwise3d_cuda_backward_input_kernelIN3c104HalfEfLi3ELi3ELi3ELi1ELi1ELi1ELin1ELin1ELin1EEEvN5torch10headeronly6detail27GenericPackedTensorAccessorINS7_14TensorAccessorINS3_8ArrayRefIlEEKT_Lm4ENS6_16DefaultPtrTraitsEiEENS_6detail16IndexBoundsCheckILm5EiEESD_Lm5ESE_iEENS8_INS9_ISB_SC_Lm4ESE_iEESI_SC_Lm5ESE_iEESJ_iiiiiiiii.num_named_barrier, 0
	.set _ZN2at6native12_GLOBAL__N_143conv_depthwise3d_cuda_backward_input_kernelIN3c104HalfEfLi3ELi3ELi3ELi1ELi1ELi1ELin1ELin1ELin1EEEvN5torch10headeronly6detail27GenericPackedTensorAccessorINS7_14TensorAccessorINS3_8ArrayRefIlEEKT_Lm4ENS6_16DefaultPtrTraitsEiEENS_6detail16IndexBoundsCheckILm5EiEESD_Lm5ESE_iEENS8_INS9_ISB_SC_Lm4ESE_iEESI_SC_Lm5ESE_iEESJ_iiiiiiiii.private_seg_size, 288
	.set _ZN2at6native12_GLOBAL__N_143conv_depthwise3d_cuda_backward_input_kernelIN3c104HalfEfLi3ELi3ELi3ELi1ELi1ELi1ELin1ELin1ELin1EEEvN5torch10headeronly6detail27GenericPackedTensorAccessorINS7_14TensorAccessorINS3_8ArrayRefIlEEKT_Lm4ENS6_16DefaultPtrTraitsEiEENS_6detail16IndexBoundsCheckILm5EiEESD_Lm5ESE_iEENS8_INS9_ISB_SC_Lm4ESE_iEESI_SC_Lm5ESE_iEESJ_iiiiiiiii.uses_vcc, 1
	.set _ZN2at6native12_GLOBAL__N_143conv_depthwise3d_cuda_backward_input_kernelIN3c104HalfEfLi3ELi3ELi3ELi1ELi1ELi1ELin1ELin1ELin1EEEvN5torch10headeronly6detail27GenericPackedTensorAccessorINS7_14TensorAccessorINS3_8ArrayRefIlEEKT_Lm4ENS6_16DefaultPtrTraitsEiEENS_6detail16IndexBoundsCheckILm5EiEESD_Lm5ESE_iEENS8_INS9_ISB_SC_Lm4ESE_iEESI_SC_Lm5ESE_iEESJ_iiiiiiiii.uses_flat_scratch, 0
	.set _ZN2at6native12_GLOBAL__N_143conv_depthwise3d_cuda_backward_input_kernelIN3c104HalfEfLi3ELi3ELi3ELi1ELi1ELi1ELin1ELin1ELin1EEEvN5torch10headeronly6detail27GenericPackedTensorAccessorINS7_14TensorAccessorINS3_8ArrayRefIlEEKT_Lm4ENS6_16DefaultPtrTraitsEiEENS_6detail16IndexBoundsCheckILm5EiEESD_Lm5ESE_iEENS8_INS9_ISB_SC_Lm4ESE_iEESI_SC_Lm5ESE_iEESJ_iiiiiiiii.has_dyn_sized_stack, 0
	.set _ZN2at6native12_GLOBAL__N_143conv_depthwise3d_cuda_backward_input_kernelIN3c104HalfEfLi3ELi3ELi3ELi1ELi1ELi1ELin1ELin1ELin1EEEvN5torch10headeronly6detail27GenericPackedTensorAccessorINS7_14TensorAccessorINS3_8ArrayRefIlEEKT_Lm4ENS6_16DefaultPtrTraitsEiEENS_6detail16IndexBoundsCheckILm5EiEESD_Lm5ESE_iEENS8_INS9_ISB_SC_Lm4ESE_iEESI_SC_Lm5ESE_iEESJ_iiiiiiiii.has_recursion, 0
	.set _ZN2at6native12_GLOBAL__N_143conv_depthwise3d_cuda_backward_input_kernelIN3c104HalfEfLi3ELi3ELi3ELi1ELi1ELi1ELin1ELin1ELin1EEEvN5torch10headeronly6detail27GenericPackedTensorAccessorINS7_14TensorAccessorINS3_8ArrayRefIlEEKT_Lm4ENS6_16DefaultPtrTraitsEiEENS_6detail16IndexBoundsCheckILm5EiEESD_Lm5ESE_iEENS8_INS9_ISB_SC_Lm4ESE_iEESI_SC_Lm5ESE_iEESJ_iiiiiiiii.has_indirect_call, 0
	.section	.AMDGPU.csdata,"",@progbits
; Kernel info:
; codeLenInByte = 8824
; TotalNumSgprs: 104
; NumVgprs: 64
; ScratchSize: 288
; MemoryBound: 0
; FloatMode: 240
; IeeeMode: 1
; LDSByteSize: 0 bytes/workgroup (compile time only)
; SGPRBlocks: 12
; VGPRBlocks: 15
; NumSGPRsForWavesPerEU: 104
; NumVGPRsForWavesPerEU: 64
; Occupancy: 4
; WaveLimiterHint : 0
; COMPUTE_PGM_RSRC2:SCRATCH_EN: 1
; COMPUTE_PGM_RSRC2:USER_SGPR: 6
; COMPUTE_PGM_RSRC2:TRAP_HANDLER: 0
; COMPUTE_PGM_RSRC2:TGID_X_EN: 1
; COMPUTE_PGM_RSRC2:TGID_Y_EN: 0
; COMPUTE_PGM_RSRC2:TGID_Z_EN: 0
; COMPUTE_PGM_RSRC2:TIDIG_COMP_CNT: 0
	.section	.text._ZN2at6native12_GLOBAL__N_143conv_depthwise3d_cuda_backward_input_kernelIN3c104HalfEfLi3ELi3ELi3ELin1ELin1ELin1ELi1ELi1ELi1EEEvN5torch10headeronly6detail27GenericPackedTensorAccessorINS7_14TensorAccessorINS3_8ArrayRefIlEEKT_Lm4ENS6_16DefaultPtrTraitsEiEENS_6detail16IndexBoundsCheckILm5EiEESD_Lm5ESE_iEENS8_INS9_ISB_SC_Lm4ESE_iEESI_SC_Lm5ESE_iEESJ_iiiiiiiii,"axG",@progbits,_ZN2at6native12_GLOBAL__N_143conv_depthwise3d_cuda_backward_input_kernelIN3c104HalfEfLi3ELi3ELi3ELin1ELin1ELin1ELi1ELi1ELi1EEEvN5torch10headeronly6detail27GenericPackedTensorAccessorINS7_14TensorAccessorINS3_8ArrayRefIlEEKT_Lm4ENS6_16DefaultPtrTraitsEiEENS_6detail16IndexBoundsCheckILm5EiEESD_Lm5ESE_iEENS8_INS9_ISB_SC_Lm4ESE_iEESI_SC_Lm5ESE_iEESJ_iiiiiiiii,comdat
	.globl	_ZN2at6native12_GLOBAL__N_143conv_depthwise3d_cuda_backward_input_kernelIN3c104HalfEfLi3ELi3ELi3ELin1ELin1ELin1ELi1ELi1ELi1EEEvN5torch10headeronly6detail27GenericPackedTensorAccessorINS7_14TensorAccessorINS3_8ArrayRefIlEEKT_Lm4ENS6_16DefaultPtrTraitsEiEENS_6detail16IndexBoundsCheckILm5EiEESD_Lm5ESE_iEENS8_INS9_ISB_SC_Lm4ESE_iEESI_SC_Lm5ESE_iEESJ_iiiiiiiii ; -- Begin function _ZN2at6native12_GLOBAL__N_143conv_depthwise3d_cuda_backward_input_kernelIN3c104HalfEfLi3ELi3ELi3ELin1ELin1ELin1ELi1ELi1ELi1EEEvN5torch10headeronly6detail27GenericPackedTensorAccessorINS7_14TensorAccessorINS3_8ArrayRefIlEEKT_Lm4ENS6_16DefaultPtrTraitsEiEENS_6detail16IndexBoundsCheckILm5EiEESD_Lm5ESE_iEENS8_INS9_ISB_SC_Lm4ESE_iEESI_SC_Lm5ESE_iEESJ_iiiiiiiii
	.p2align	8
	.type	_ZN2at6native12_GLOBAL__N_143conv_depthwise3d_cuda_backward_input_kernelIN3c104HalfEfLi3ELi3ELi3ELin1ELin1ELin1ELi1ELi1ELi1EEEvN5torch10headeronly6detail27GenericPackedTensorAccessorINS7_14TensorAccessorINS3_8ArrayRefIlEEKT_Lm4ENS6_16DefaultPtrTraitsEiEENS_6detail16IndexBoundsCheckILm5EiEESD_Lm5ESE_iEENS8_INS9_ISB_SC_Lm4ESE_iEESI_SC_Lm5ESE_iEESJ_iiiiiiiii,@function
_ZN2at6native12_GLOBAL__N_143conv_depthwise3d_cuda_backward_input_kernelIN3c104HalfEfLi3ELi3ELi3ELin1ELin1ELin1ELi1ELi1ELi1EEEvN5torch10headeronly6detail27GenericPackedTensorAccessorINS7_14TensorAccessorINS3_8ArrayRefIlEEKT_Lm4ENS6_16DefaultPtrTraitsEiEENS_6detail16IndexBoundsCheckILm5EiEESD_Lm5ESE_iEENS8_INS9_ISB_SC_Lm4ESE_iEESI_SC_Lm5ESE_iEESJ_iiiiiiiii: ; @_ZN2at6native12_GLOBAL__N_143conv_depthwise3d_cuda_backward_input_kernelIN3c104HalfEfLi3ELi3ELi3ELin1ELin1ELin1ELi1ELi1ELi1EEEvN5torch10headeronly6detail27GenericPackedTensorAccessorINS7_14TensorAccessorINS3_8ArrayRefIlEEKT_Lm4ENS6_16DefaultPtrTraitsEiEENS_6detail16IndexBoundsCheckILm5EiEESD_Lm5ESE_iEENS8_INS9_ISB_SC_Lm4ESE_iEESI_SC_Lm5ESE_iEESJ_iiiiiiiii
; %bb.0:
	s_load_dwordx4 s[28:31], s[4:5], 0x38
	s_load_dwordx2 s[34:35], s[4:5], 0x48
	s_mov_b64 s[98:99], s[2:3]
	s_mov_b64 s[96:97], s[0:1]
	s_add_u32 s96, s96, s7
	s_addc_u32 s97, s97, 0
	s_waitcnt lgkmcnt(0)
	s_abs_i32 s33, s29
	v_cvt_f32_u32_e32 v2, s33
	s_load_dword s2, s[4:5], 0xc4
	s_add_u32 s0, s4, 0xb8
	v_mov_b32_e32 v1, 0
	v_rcp_iflag_f32_e32 v2, v2
	v_mov_b32_e32 v3, s6
	s_addc_u32 s1, s5, 0
	s_waitcnt lgkmcnt(0)
	s_and_b32 s2, s2, 0xffff
	v_mul_f32_e32 v2, 0x4f7ffffe, v2
	v_mad_u64_u32 v[9:10], s[6:7], s2, v3, v[0:1]
	v_cvt_u32_f32_e32 v0, v2
	s_mul_i32 s6, s35, s28
	s_ashr_i32 s7, s6, 31
                                        ; implicit-def: $vgpr63 : SGPR spill to VGPR lane
	v_writelane_b32 v63, s6, 0
	v_cmp_gt_i64_e32 vcc, s[6:7], v[9:10]
	v_writelane_b32 v63, s7, 1
	v_readfirstlane_b32 s3, v0
	s_and_saveexec_b64 s[6:7], vcc
	s_cbranch_execz .LBB24_62
; %bb.1:
	s_load_dwordx4 s[36:39], s[4:5], 0xc
	s_load_dwordx2 s[8:9], s[4:5], 0x0
	s_sub_i32 s6, 0, s33
	s_ashr_i32 s10, s29, 31
	s_load_dwordx2 s[52:53], s[4:5], 0xac
	s_waitcnt lgkmcnt(0)
	s_ashr_i32 s7, s36, 31
	v_writelane_b32 v63, s8, 2
	v_writelane_b32 v63, s9, 3
	s_mul_i32 s9, s6, s3
	s_mul_hi_u32 s9, s3, s9
	s_abs_i32 s8, s36
	s_add_i32 s3, s3, s9
	s_mul_hi_u32 s3, s8, s3
	s_mul_i32 s9, s3, s33
	s_sub_i32 s8, s8, s9
	v_writelane_b32 v63, s10, 4
	s_xor_b32 s7, s7, s10
	s_add_i32 s9, s3, 1
	s_sub_i32 s10, s8, s33
	s_cmp_ge_u32 s8, s33
	s_cselect_b32 s3, s9, s3
	s_cselect_b32 s8, s10, s8
	s_add_i32 s9, s3, 1
	s_cmp_ge_u32 s8, s33
	s_cselect_b32 s3, s9, s3
	s_xor_b32 s3, s3, s7
	s_sub_i32 s36, s3, s7
	s_cmp_gt_i32 s36, 0
	s_load_dword s3, s[0:1], 0x0
	s_cselect_b64 s[0:1], -1, 0
	s_abs_i32 s28, s34
	v_cvt_f32_u32_e32 v1, s28
	s_load_dwordx4 s[40:43], s[4:5], 0x9c
	s_load_dword s7, s[4:5], 0x7c
	s_load_dwordx2 s[8:9], s[4:5], 0x60
	s_load_dwordx4 s[44:47], s[4:5], 0x50
	v_rcp_iflag_f32_e32 v1, v1
	s_waitcnt lgkmcnt(0)
	s_mul_i32 s2, s3, s2
	v_writelane_b32 v63, s7, 5
	v_writelane_b32 v63, s8, 6
	;; [unrolled: 1-line block ×3, first 2 shown]
	v_mul_f32_e32 v1, 0x4f7ffffe, v1
	v_writelane_b32 v63, s2, 8
	s_lshl_b32 s2, s53, 1
	v_cvt_u32_f32_e32 v1, v1
	v_writelane_b32 v63, s2, 9
	s_lshl_b32 s2, s52, 1
	v_writelane_b32 v63, s2, 10
	s_lshl_b32 s2, s43, 1
	v_writelane_b32 v63, s2, 11
	s_sub_i32 s2, 0, s28
	v_mul_lo_u32 v2, s2, v1
	s_abs_i32 s50, s31
	v_cvt_f32_u32_e32 v3, s50
	s_abs_i32 s51, s30
	v_cvt_f32_u32_e32 v4, s51
	v_mul_hi_u32 v2, v1, v2
	v_rcp_iflag_f32_e32 v3, v3
	s_load_dwordx2 s[54:55], s[4:5], 0x1c
	s_load_dwordx2 s[56:57], s[4:5], 0x30
	v_rcp_iflag_f32_e32 v4, v4
	v_add_u32_e32 v1, v1, v2
	buffer_store_dword v1, off, s[96:99], 0 offset:256 ; 4-byte Folded Spill
	v_mul_f32_e32 v1, 0x4f7ffffe, v3
	v_cvt_u32_f32_e32 v1, v1
	v_mul_f32_e32 v2, 0x4f7ffffe, v4
	v_cvt_u32_f32_e32 v2, v2
	v_mul_lo_u32 v5, s6, v0
	s_ashr_i32 s2, s34, 31
	v_writelane_b32 v63, s2, 12
	s_sub_i32 s2, 0, s50
	v_mul_lo_u32 v3, s2, v1
	s_sub_i32 s2, 0, s51
	v_mul_lo_u32 v4, s2, v2
	v_mul_hi_u32 v5, v0, v5
	v_mul_hi_u32 v3, v1, v3
	s_ashr_i32 s2, s31, 31
	v_mul_hi_u32 v4, v2, v4
	v_add_u32_e32 v0, v0, v5
	v_writelane_b32 v63, s2, 13
	s_ashr_i32 s2, s30, 31
	buffer_store_dword v0, off, s[96:99], 0 offset:268 ; 4-byte Folded Spill
	v_cndmask_b32_e64 v0, 0, 1, s[0:1]
	v_writelane_b32 v63, s2, 14
	v_cmp_ne_u32_e64 s[0:1], 1, v0
	v_add_u32_e32 v1, v1, v3
	v_writelane_b32 v63, s0, 15
	buffer_store_dword v1, off, s[96:99], 0 offset:260 ; 4-byte Folded Spill
	v_add_u32_e32 v1, v2, v4
	s_mov_b64 s[60:61], 0
	v_writelane_b32 v63, s1, 16
                                        ; kill: killed $sgpr4 killed $sgpr5
	buffer_store_dword v1, off, s[96:99], 0 offset:264 ; 4-byte Folded Spill
	s_branch .LBB24_4
.LBB24_2:                               ;   in Loop: Header=BB24_4 Depth=1
	s_or_b64 exec, exec, s[10:11]
	buffer_load_dword v9, off, s[96:99], 0 offset:228 ; 4-byte Folded Reload
	buffer_load_dword v10, off, s[96:99], 0 offset:232 ; 4-byte Folded Reload
	;; [unrolled: 1-line block ×7, first 2 shown]
	v_cvt_f16_f32_e32 v0, v1
.LBB24_3:                               ;   in Loop: Header=BB24_4 Depth=1
	s_waitcnt vmcnt(1)
	v_mul_lo_u32 v1, v23, s35
	s_waitcnt vmcnt(0)
	v_mul_lo_u32 v3, s44, v57
	s_waitcnt lgkmcnt(0)
	v_mov_b32_e32 v4, s57
	v_readlane_b32 s0, v63, 8
	v_ashrrev_i32_e32 v2, 31, v1
	v_lshlrev_b64 v[1:2], 1, v[1:2]
	v_add_co_u32_e32 v5, vcc, s56, v1
	v_addc_co_u32_e32 v6, vcc, v4, v2, vcc
	v_ashrrev_i32_e32 v4, 31, v3
	v_lshlrev_b64 v[1:2], 1, v[3:4]
	v_mul_lo_u32 v3, s45, v7
	v_add_co_u32_e32 v5, vcc, v5, v1
	v_addc_co_u32_e32 v6, vcc, v6, v2, vcc
	v_ashrrev_i32_e32 v4, 31, v3
	v_lshlrev_b64 v[1:2], 1, v[3:4]
	v_mul_lo_u32 v3, s46, v8
	;; [unrolled: 5-line block ×3, first 2 shown]
	v_add_co_u32_e32 v5, vcc, v5, v1
	v_addc_co_u32_e32 v6, vcc, v6, v2, vcc
	v_ashrrev_i32_e32 v4, 31, v3
	v_add_co_u32_e32 v9, vcc, s0, v9
	v_readlane_b32 s0, v63, 0
	v_lshlrev_b64 v[1:2], 1, v[3:4]
	v_addc_co_u32_e32 v10, vcc, 0, v10, vcc
	v_readlane_b32 s1, v63, 1
	v_cmp_le_i64_e32 vcc, s[0:1], v[9:10]
	v_add_co_u32_e64 v1, s[2:3], v5, v1
	v_addc_co_u32_e64 v2, s[2:3], v6, v2, s[2:3]
	s_or_b64 s[60:61], vcc, s[60:61]
	global_store_short v[1:2], v0, off
	s_andn2_b64 exec, exec, s[60:61]
	s_cbranch_execz .LBB24_62
.LBB24_4:                               ; =>This Loop Header: Depth=1
                                        ;     Child Loop BB24_7 Depth 2
	buffer_load_dword v1, off, s[96:99], 0 offset:256 ; 4-byte Folded Reload
	v_sub_u32_e32 v0, 0, v9
	v_max_i32_e32 v0, v9, v0
	v_ashrrev_i32_e32 v3, 31, v9
	v_readlane_b32 s0, v63, 12
	v_xor_b32_e32 v3, s0, v3
	v_readlane_b32 s0, v63, 13
	s_waitcnt vmcnt(0)
	v_mul_hi_u32 v1, v0, v1
	v_mul_lo_u32 v2, v1, s28
	v_add_u32_e32 v4, 1, v1
	v_sub_u32_e32 v0, v0, v2
	v_cmp_le_u32_e32 vcc, s28, v0
	v_subrev_u32_e32 v2, s28, v0
	v_cndmask_b32_e32 v1, v1, v4, vcc
	v_cndmask_b32_e32 v0, v0, v2, vcc
	v_add_u32_e32 v2, 1, v1
	v_cmp_le_u32_e32 vcc, s28, v0
	v_cndmask_b32_e32 v0, v1, v2, vcc
	buffer_load_dword v2, off, s[96:99], 0 offset:260 ; 4-byte Folded Reload
	v_xor_b32_e32 v0, v0, v3
	v_sub_u32_e32 v0, v0, v3
	v_sub_u32_e32 v1, 0, v0
	v_max_i32_e32 v1, v0, v1
	v_ashrrev_i32_e32 v4, 31, v0
	v_xor_b32_e32 v4, s0, v4
	v_readlane_b32 s0, v63, 14
	s_waitcnt vmcnt(0)
	v_mul_hi_u32 v2, v1, v2
	v_mul_lo_u32 v3, v2, s50
	v_add_u32_e32 v5, 1, v2
	v_sub_u32_e32 v1, v1, v3
	v_cmp_le_u32_e32 vcc, s50, v1
	v_subrev_u32_e32 v3, s50, v1
	v_cndmask_b32_e32 v2, v2, v5, vcc
	v_cndmask_b32_e32 v1, v1, v3, vcc
	v_add_u32_e32 v3, 1, v2
	v_cmp_le_u32_e32 vcc, s50, v1
	v_cndmask_b32_e32 v1, v2, v3, vcc
	buffer_load_dword v3, off, s[96:99], 0 offset:264 ; 4-byte Folded Reload
	v_xor_b32_e32 v1, v1, v4
	v_sub_u32_e32 v1, v1, v4
	v_sub_u32_e32 v2, 0, v1
	v_max_i32_e32 v2, v1, v2
	v_ashrrev_i32_e32 v6, 31, v1
	v_xor_b32_e32 v6, s0, v6
	v_mul_lo_u32 v4, v0, s34
	v_readlane_b32 s0, v63, 4
	v_sub_u32_e32 v11, v9, v4
	v_mul_lo_u32 v4, v1, s31
	s_waitcnt vmcnt(0)
	v_mul_hi_u32 v3, v2, v3
	v_mul_lo_u32 v5, v3, s51
	v_add_u32_e32 v7, 1, v3
	v_sub_u32_e32 v2, v2, v5
	v_cmp_le_u32_e32 vcc, s51, v2
	v_subrev_u32_e32 v5, s51, v2
	v_cndmask_b32_e32 v3, v3, v7, vcc
	v_cndmask_b32_e32 v2, v2, v5, vcc
	v_add_u32_e32 v5, 1, v3
	v_cmp_le_u32_e32 vcc, s51, v2
	v_cndmask_b32_e32 v2, v3, v5, vcc
	buffer_load_dword v5, off, s[96:99], 0 offset:268 ; 4-byte Folded Reload
	v_xor_b32_e32 v2, v2, v6
	v_sub_u32_e32 v2, v2, v6
	v_sub_u32_e32 v3, 0, v2
	v_max_i32_e32 v3, v2, v3
	v_ashrrev_i32_e32 v8, 31, v2
	v_xor_b32_e32 v8, s0, v8
	v_mul_lo_u32 v7, v2, s30
	v_readlane_b32 s0, v63, 15
	v_readlane_b32 s1, v63, 16
	v_sub_u32_e32 v7, v1, v7
	s_waitcnt vmcnt(0)
	v_mul_hi_u32 v5, v3, v5
	v_mul_lo_u32 v6, v5, s33
	v_sub_u32_e32 v3, v3, v6
	v_add_u32_e32 v6, 1, v5
	v_cmp_le_u32_e32 vcc, s33, v3
	v_cndmask_b32_e32 v5, v5, v6, vcc
	v_subrev_u32_e32 v6, s33, v3
	v_cndmask_b32_e32 v3, v3, v6, vcc
	v_add_u32_e32 v6, 1, v5
	v_cmp_le_u32_e32 vcc, s33, v3
	v_cndmask_b32_e32 v3, v5, v6, vcc
	v_xor_b32_e32 v3, v3, v8
	v_sub_u32_e32 v23, v3, v8
	v_mul_lo_u32 v3, v23, s29
	v_sub_u32_e32 v8, v0, v4
	s_and_b64 vcc, exec, s[0:1]
	v_sub_u32_e32 v57, v2, v3
	s_cbranch_vccnz .LBB24_61
; %bb.5:                                ;   in Loop: Header=BB24_4 Depth=1
	v_add_u32_e32 v5, s41, v8
	v_add_u32_e32 v0, s42, v11
	;; [unrolled: 1-line block ×3, first 2 shown]
	v_or_b32_e32 v3, v0, v5
	v_readlane_b32 s0, v63, 10
	v_or_b32_e32 v1, v3, v2
	buffer_store_dword v9, off, s[96:99], 0 offset:228 ; 4-byte Folded Spill
	s_nop 0
	buffer_store_dword v10, off, s[96:99], 0 offset:232 ; 4-byte Folded Spill
	buffer_store_dword v7, off, s[96:99], 0 offset:244 ; 4-byte Folded Spill
	v_subrev_u32_e32 v7, s0, v5
	v_cmp_lt_i32_e32 vcc, -1, v1
	v_subrev_u32_e32 v1, s53, v0
	v_readlane_b32 s0, v63, 9
	v_or_b32_e32 v16, v1, v5
	v_subrev_u32_e32 v20, s0, v0
	v_subrev_u32_e32 v9, s52, v5
	v_or_b32_e32 v4, v16, v2
	v_or_b32_e32 v18, v20, v5
	v_cmp_gt_i32_e64 s[20:21], s38, v5
	v_cmp_gt_i32_e64 s[22:23], s39, v0
	;; [unrolled: 1-line block ×4, first 2 shown]
	buffer_store_dword v8, off, s[96:99], 0 offset:240 ; 4-byte Folded Spill
	v_or_b32_e32 v8, v0, v9
	v_cmp_lt_i32_e64 s[2:3], -1, v4
	v_or_b32_e32 v4, v18, v2
	s_and_b64 s[88:89], s[22:23], s[20:21]
	s_and_b64 s[86:87], s[24:25], s[20:21]
	s_and_b64 s[84:85], s[26:27], s[20:21]
	v_cmp_gt_i32_e64 s[20:21], s38, v9
	v_or_b32_e32 v14, v1, v9
	v_cmp_lt_i32_e64 s[4:5], -1, v4
	v_or_b32_e32 v4, v8, v2
	s_and_b64 s[82:83], s[22:23], s[20:21]
	s_and_b64 s[90:91], s[24:25], s[20:21]
	s_and_b64 s[48:49], s[26:27], s[20:21]
	v_cmp_gt_i32_e64 s[20:21], s38, v7
	;; [unrolled: 7-line block ×3, first 2 shown]
	s_and_b64 s[2:3], s[86:87], s[2:3]
	buffer_store_dword v11, off, s[96:99], 0 offset:236 ; 4-byte Folded Spill
	v_or_b32_e32 v11, v0, v7
	v_cmp_lt_i32_e64 s[8:9], -1, v4
	v_or_b32_e32 v4, v17, v2
	s_and_b64 s[24:25], s[2:3], s[20:21]
	s_and_b64 s[2:3], s[84:85], s[4:5]
	v_cmp_lt_i32_e64 s[10:11], -1, v4
	v_or_b32_e32 v4, v11, v2
	v_or_b32_e32 v13, v1, v7
	s_and_b64 s[26:27], s[2:3], s[20:21]
	s_and_b64 s[2:3], s[82:83], s[6:7]
	v_cmp_lt_i32_e64 s[12:13], -1, v4
	v_or_b32_e32 v4, v13, v2
	;; [unrolled: 5-line block ×3, first 2 shown]
	v_subrev_u32_e32 v19, s43, v2
	s_and_b64 s[64:65], s[2:3], s[20:21]
	s_and_b64 s[2:3], s[48:49], s[10:11]
	v_cmp_lt_i32_e64 s[16:17], -1, v4
	v_or_b32_e32 v4, v3, v19
	s_and_b64 s[66:67], s[2:3], s[20:21]
	s_and_b64 s[2:3], s[0:1], s[12:13]
	v_cmp_lt_i32_e64 s[18:19], -1, v4
	s_and_b64 s[12:13], s[2:3], s[20:21]
	s_and_b64 s[2:3], s[94:95], s[14:15]
	v_or_b32_e32 v4, v16, v19
	s_and_b64 s[22:23], s[88:89], vcc
	s_and_b64 s[14:15], s[2:3], s[20:21]
	s_and_b64 s[2:3], s[92:93], s[16:17]
	v_cmp_lt_i32_e32 vcc, -1, v4
	v_or_b32_e32 v4, v18, v19
	s_and_b64 s[16:17], s[2:3], s[20:21]
	v_or_b32_e32 v6, v8, v19
	v_cmp_lt_i32_e64 s[2:3], -1, v4
	v_cmp_gt_i32_e64 s[4:5], s37, v19
	s_and_b64 s[6:7], s[88:89], s[18:19]
	v_or_b32_e32 v10, v14, v19
	s_and_b64 s[18:19], s[6:7], s[4:5]
	s_and_b64 s[6:7], s[86:87], vcc
	s_and_b64 s[2:3], s[84:85], s[2:3]
	v_cmp_lt_i32_e32 vcc, -1, v6
	v_or_b32_e32 v4, v17, v19
	s_and_b64 s[68:69], s[2:3], s[4:5]
	s_and_b64 s[2:3], s[82:83], vcc
	v_cmp_lt_i32_e32 vcc, -1, v10
	v_or_b32_e32 v12, v11, v19
	s_and_b64 s[70:71], s[2:3], s[4:5]
	s_and_b64 s[2:3], s[90:91], vcc
	;; [unrolled: 4-line block ×4, first 2 shown]
	v_cmp_lt_i32_e32 vcc, -1, v21
	s_and_b64 s[76:77], s[2:3], s[4:5]
	s_and_b64 s[2:3], s[94:95], vcc
	v_cmp_lt_i32_e32 vcc, -1, v22
	v_mul_lo_u32 v60, v57, s36
	s_and_b64 s[78:79], s[2:3], s[4:5]
	s_and_b64 s[2:3], s[92:93], vcc
	s_and_b64 s[80:81], s[2:3], s[4:5]
	v_readlane_b32 s2, v63, 11
	v_mul_lo_u32 v26, v2, s38
	v_subrev_u32_e32 v21, s2, v2
	v_readlane_b32 s2, v63, 5
	v_mul_lo_u32 v2, s2, v60
	v_or_b32_e32 v3, v3, v21
	v_cmp_lt_i32_e32 vcc, -1, v3
	v_add_u32_e32 v3, v5, v26
	s_waitcnt lgkmcnt(0)
	v_mul_lo_u32 v22, s54, v23
	v_mul_lo_u32 v27, v3, s39
	v_add_u32_e32 v3, v9, v26
	v_mul_lo_u32 v28, v3, s39
	v_ashrrev_i32_e32 v3, 31, v2
	s_and_b64 s[22:23], s[22:23], s[20:21]
	s_and_b64 s[20:21], s[6:7], s[4:5]
	v_readlane_b32 s4, v63, 6
	v_lshlrev_b64 v[2:3], 1, v[2:3]
	v_readlane_b32 s5, v63, 7
	buffer_store_dword v23, off, s[96:99], 0 offset:248 ; 4-byte Folded Spill
	v_ashrrev_i32_e32 v23, 31, v22
	s_and_b64 s[10:11], s[88:89], vcc
	v_mov_b32_e32 v12, s5
	v_readlane_b32 s2, v63, 2
	v_add_co_u32_e32 v2, vcc, s4, v2
	v_lshlrev_b64 v[24:25], 1, v[22:23]
	v_mul_lo_u32 v19, v19, s38
	v_or_b32_e32 v42, v15, v21
	v_mul_lo_u32 v15, v21, s38
	v_readlane_b32 s3, v63, 3
	v_addc_co_u32_e32 v3, vcc, v12, v3, vcc
	v_mov_b32_e32 v29, s3
	v_add_u32_e32 v22, v7, v26
	v_add_co_u32_e32 v62, vcc, s2, v24
	v_mul_lo_u32 v23, v22, s39
	v_addc_co_u32_e32 v22, vcc, v29, v25, vcc
	v_add_u32_e32 v4, v0, v27
	buffer_store_dword v22, off, s[96:99], 0 offset:4 ; 4-byte Folded Spill
	v_or_b32_e32 v22, v16, v21
	v_add_u32_e32 v24, v5, v19
	v_add_u32_e32 v5, v5, v15
	v_cmp_lt_i32_e64 s[2:3], -1, v22
	v_or_b32_e32 v22, v18, v21
	v_or_b32_e32 v17, v17, v21
	v_mul_lo_u32 v46, v5, s39
	v_ashrrev_i32_e32 v5, 31, v4
	v_cmp_lt_i32_e64 s[6:7], -1, v22
	s_and_b64 s[86:87], s[86:87], s[2:3]
	v_cmp_lt_i32_e64 s[2:3], -1, v17
	v_add_u32_e32 v17, v7, v19
	v_lshlrev_b64 v[4:5], 1, v[4:5]
	v_add_u32_e32 v6, v1, v27
	v_mul_lo_u32 v25, v24, s39
	v_or_b32_e32 v24, v8, v21
	v_or_b32_e32 v14, v14, v21
	v_add_u32_e32 v26, v9, v19
	v_or_b32_e32 v11, v11, v21
	v_or_b32_e32 v13, v13, v21
	s_and_b64 s[88:89], s[84:85], s[6:7]
	v_cmp_gt_i32_e64 s[6:7], s37, v21
	v_add_u32_e32 v21, v9, v15
	v_mul_lo_u32 v9, v17, s39
	v_add_u32_e32 v52, v7, v15
	v_ashrrev_i32_e32 v7, 31, v6
	buffer_store_dword v4, off, s[96:99], 0 offset:12 ; 4-byte Folded Spill
	s_nop 0
	buffer_store_dword v5, off, s[96:99], 0 offset:16 ; 4-byte Folded Spill
	v_lshlrev_b64 v[4:5], 1, v[6:7]
	v_add_u32_e32 v8, v20, v27
	v_add_u32_e32 v34, v0, v9
	;; [unrolled: 1-line block ×4, first 2 shown]
	v_ashrrev_i32_e32 v9, 31, v8
	buffer_store_dword v4, off, s[96:99], 0 offset:20 ; 4-byte Folded Spill
	s_nop 0
	buffer_store_dword v5, off, s[96:99], 0 offset:24 ; 4-byte Folded Spill
	v_lshlrev_b64 v[4:5], 1, v[8:9]
	v_add_u32_e32 v10, v0, v28
	v_cmp_lt_i32_e64 s[4:5], -1, v24
	s_and_b64 s[58:59], s[82:83], s[4:5]
	v_cmp_lt_i32_e64 s[4:5], -1, v11
	v_ashrrev_i32_e32 v11, 31, v10
	buffer_store_dword v4, off, s[96:99], 0 offset:28 ; 4-byte Folded Spill
	s_nop 0
	buffer_store_dword v5, off, s[96:99], 0 offset:32 ; 4-byte Folded Spill
	v_lshlrev_b64 v[4:5], 1, v[10:11]
	v_add_u32_e32 v12, v1, v28
	v_cmp_lt_i32_e64 s[8:9], -1, v13
	v_ashrrev_i32_e32 v13, 31, v12
	buffer_store_dword v4, off, s[96:99], 0 offset:36 ; 4-byte Folded Spill
	s_nop 0
	buffer_store_dword v5, off, s[96:99], 0 offset:40 ; 4-byte Folded Spill
	v_lshlrev_b64 v[4:5], 1, v[12:13]
	v_cmp_lt_i32_e32 vcc, -1, v14
	v_add_u32_e32 v14, v20, v28
	v_ashrrev_i32_e32 v15, 31, v14
	buffer_store_dword v4, off, s[96:99], 0 offset:44 ; 4-byte Folded Spill
	s_nop 0
	buffer_store_dword v5, off, s[96:99], 0 offset:48 ; 4-byte Folded Spill
	v_lshlrev_b64 v[4:5], 1, v[14:15]
	v_add_u32_e32 v16, v0, v23
	v_ashrrev_i32_e32 v17, 31, v16
	buffer_store_dword v4, off, s[96:99], 0 offset:52 ; 4-byte Folded Spill
	s_nop 0
	buffer_store_dword v5, off, s[96:99], 0 offset:56 ; 4-byte Folded Spill
	v_lshlrev_b64 v[4:5], 1, v[16:17]
	;; [unrolled: 6-line block ×5, first 2 shown]
	v_add_u32_e32 v24, v1, v25
	v_add_u32_e32 v32, v20, v25
	v_ashrrev_i32_e32 v25, 31, v24
	buffer_store_dword v4, off, s[96:99], 0 offset:84 ; 4-byte Folded Spill
	s_nop 0
	buffer_store_dword v5, off, s[96:99], 0 offset:88 ; 4-byte Folded Spill
	v_mul_lo_u32 v27, v26, s39
	v_lshlrev_b64 v[4:5], 1, v[24:25]
	v_ashrrev_i32_e32 v33, 31, v32
	buffer_store_dword v4, off, s[96:99], 0 offset:92 ; 4-byte Folded Spill
	s_nop 0
	buffer_store_dword v5, off, s[96:99], 0 offset:96 ; 4-byte Folded Spill
	v_lshlrev_b64 v[4:5], 1, v[32:33]
	v_add_u32_e32 v28, v0, v27
	v_ashrrev_i32_e32 v29, 31, v28
	buffer_store_dword v4, off, s[96:99], 0 offset:100 ; 4-byte Folded Spill
	s_nop 0
	buffer_store_dword v5, off, s[96:99], 0 offset:104 ; 4-byte Folded Spill
	v_lshlrev_b64 v[4:5], 1, v[28:29]
	v_add_u32_e32 v26, v1, v27
	v_add_u32_e32 v36, v20, v27
	v_ashrrev_i32_e32 v27, 31, v26
	buffer_store_dword v4, off, s[96:99], 0 offset:108 ; 4-byte Folded Spill
	s_nop 0
	buffer_store_dword v5, off, s[96:99], 0 offset:112 ; 4-byte Folded Spill
	v_lshlrev_b64 v[4:5], 1, v[26:27]
	v_ashrrev_i32_e32 v37, 31, v36
	buffer_store_dword v4, off, s[96:99], 0 offset:116 ; 4-byte Folded Spill
	s_nop 0
	buffer_store_dword v5, off, s[96:99], 0 offset:120 ; 4-byte Folded Spill
	v_lshlrev_b64 v[4:5], 1, v[36:37]
	;; [unrolled: 5-line block ×5, first 2 shown]
	s_and_b64 s[82:83], s[10:11], s[6:7]
	v_cmp_lt_i32_e64 s[10:11], -1, v42
	v_add_u32_e32 v42, v0, v46
	v_ashrrev_i32_e32 v43, 31, v42
	buffer_store_dword v4, off, s[96:99], 0 offset:148 ; 4-byte Folded Spill
	s_nop 0
	buffer_store_dword v5, off, s[96:99], 0 offset:152 ; 4-byte Folded Spill
	v_lshlrev_b64 v[4:5], 1, v[42:43]
	v_add_u32_e32 v44, v1, v46
	v_ashrrev_i32_e32 v45, 31, v44
	buffer_store_dword v4, off, s[96:99], 0 offset:156 ; 4-byte Folded Spill
	s_nop 0
	buffer_store_dword v5, off, s[96:99], 0 offset:160 ; 4-byte Folded Spill
	v_mul_lo_u32 v21, v21, s39
	v_lshlrev_b64 v[4:5], 1, v[44:45]
	v_add_u32_e32 v46, v20, v46
	v_ashrrev_i32_e32 v47, 31, v46
	buffer_store_dword v4, off, s[96:99], 0 offset:164 ; 4-byte Folded Spill
	s_nop 0
	buffer_store_dword v5, off, s[96:99], 0 offset:168 ; 4-byte Folded Spill
	v_lshlrev_b64 v[4:5], 1, v[46:47]
	v_add_u32_e32 v48, v0, v21
	v_ashrrev_i32_e32 v49, 31, v48
	buffer_store_dword v4, off, s[96:99], 0 offset:172 ; 4-byte Folded Spill
	s_nop 0
	buffer_store_dword v5, off, s[96:99], 0 offset:176 ; 4-byte Folded Spill
	;; [unrolled: 6-line block ×3, first 2 shown]
	v_mul_lo_u32 v56, v52, s39
	v_lshlrev_b64 v[4:5], 1, v[50:51]
	v_add_u32_e32 v52, v20, v21
	v_ashrrev_i32_e32 v53, 31, v52
	buffer_store_dword v4, off, s[96:99], 0 offset:188 ; 4-byte Folded Spill
	s_nop 0
	buffer_store_dword v5, off, s[96:99], 0 offset:192 ; 4-byte Folded Spill
	v_lshlrev_b64 v[4:5], 1, v[52:53]
	v_add_u32_e32 v54, v0, v56
	v_add_u32_e32 v0, v1, v56
	s_and_b64 s[0:1], s[0:1], s[4:5]
	v_ashrrev_i32_e32 v55, 31, v54
	v_ashrrev_i32_e32 v1, 31, v0
	buffer_store_dword v4, off, s[96:99], 0 offset:196 ; 4-byte Folded Spill
	s_nop 0
	buffer_store_dword v5, off, s[96:99], 0 offset:200 ; 4-byte Folded Spill
	s_and_b64 s[4:5], s[0:1], s[6:7]
	s_and_b64 s[0:1], s[94:95], s[8:9]
	v_lshlrev_b64 v[4:5], 1, v[54:55]
	v_lshlrev_b64 v[0:1], 1, v[0:1]
	s_and_b64 s[84:85], s[86:87], s[6:7]
	s_and_b64 s[86:87], s[88:89], s[6:7]
	s_and_b64 s[88:89], s[58:59], s[6:7]
	s_and_b64 s[58:59], s[90:91], vcc
	s_and_b64 s[2:3], s[48:49], s[2:3]
	s_and_b64 s[8:9], s[0:1], s[6:7]
	;; [unrolled: 1-line block ×3, first 2 shown]
	v_add_u32_e32 v20, v20, v56
	s_and_b64 s[90:91], s[58:59], s[6:7]
	s_and_b64 s[2:3], s[2:3], s[6:7]
	;; [unrolled: 1-line block ×3, first 2 shown]
	v_ashrrev_i32_e32 v21, 31, v20
	buffer_store_dword v4, off, s[96:99], 0 offset:204 ; 4-byte Folded Spill
	s_nop 0
	buffer_store_dword v5, off, s[96:99], 0 offset:208 ; 4-byte Folded Spill
	buffer_store_dword v0, off, s[96:99], 0 offset:212 ; 4-byte Folded Spill
	s_nop 0
	buffer_store_dword v1, off, s[96:99], 0 offset:216 ; 4-byte Folded Spill
	s_mul_i32 s0, s55, s36
	v_lshlrev_b64 v[0:1], 1, v[20:21]
	v_mul_lo_u32 v58, s0, v57
	buffer_store_dword v0, off, s[96:99], 0 offset:220 ; 4-byte Folded Spill
	s_nop 0
	buffer_store_dword v1, off, s[96:99], 0 offset:224 ; 4-byte Folded Spill
	s_mov_b64 s[10:11], 0
	v_add_u32_e32 v0, s36, v60
	v_mov_b32_e32 v1, 0
	buffer_store_dword v0, off, s[96:99], 0 offset:8 ; 4-byte Folded Spill
	buffer_store_dword v57, off, s[96:99], 0 offset:252 ; 4-byte Folded Spill
	s_branch .LBB24_7
.LBB24_6:                               ;   in Loop: Header=BB24_7 Depth=2
	s_or_b64 exec, exec, s[0:1]
	buffer_load_dword v4, off, s[96:99], 0  ; 4-byte Folded Reload
	v_add_co_u32_e32 v2, vcc, 54, v2
	v_addc_co_u32_e32 v3, vcc, 0, v3, vcc
	v_add_u32_e32 v60, 1, v60
	v_add_u32_e32 v58, s55, v58
	s_waitcnt vmcnt(0)
	v_fma_mix_f32 v1, v59, v4, v1 op_sel_hi:[0,1,0]
	v_fma_mix_f32 v1, v7, v5, v1 op_sel_hi:[0,1,0]
	;; [unrolled: 1-line block ×3, first 2 shown]
	buffer_load_dword v0, off, s[96:99], 0 offset:8 ; 4-byte Folded Reload
	v_fma_mix_f32 v1, v11, v57, v1 op_sel_hi:[0,1,0]
	v_fma_mix_f32 v1, v10, v12, v1 op_sel_hi:[0,1,0]
	;; [unrolled: 1-line block ×24, first 2 shown]
	s_waitcnt vmcnt(0)
	v_cmp_ge_i32_e32 vcc, v60, v0
	s_or_b64 s[10:11], vcc, s[10:11]
	s_andn2_b64 exec, exec, s[10:11]
	s_cbranch_execz .LBB24_2
.LBB24_7:                               ;   Parent Loop BB24_4 Depth=1
                                        ; =>  This Inner Loop Header: Depth=2
	v_ashrrev_i32_e32 v59, 31, v58
	v_lshlrev_b64 v[4:5], 1, v[58:59]
	global_load_ushort v0, v[2:3], off
	v_add_co_u32_e32 v61, vcc, v62, v4
	buffer_load_dword v4, off, s[96:99], 0 offset:4 ; 4-byte Folded Reload
	v_mov_b32_e32 v59, 0
	s_waitcnt vmcnt(1)
	buffer_store_dword v0, off, s[96:99], 0 ; 4-byte Folded Spill
	s_waitcnt vmcnt(1)
	v_addc_co_u32_e32 v4, vcc, v4, v5, vcc
	s_and_saveexec_b64 s[0:1], s[22:23]
	s_cbranch_execz .LBB24_9
; %bb.8:                                ;   in Loop: Header=BB24_7 Depth=2
	buffer_load_dword v5, off, s[96:99], 0 offset:12 ; 4-byte Folded Reload
	buffer_load_dword v6, off, s[96:99], 0 offset:16 ; 4-byte Folded Reload
	s_waitcnt vmcnt(1)
	v_add_co_u32_e32 v5, vcc, v61, v5
	s_waitcnt vmcnt(0)
	v_addc_co_u32_e32 v6, vcc, v4, v6, vcc
	global_load_ushort v5, v[5:6], off
	s_waitcnt vmcnt(0)
	v_cvt_f32_f16_e32 v59, v5
.LBB24_9:                               ;   in Loop: Header=BB24_7 Depth=2
	s_or_b64 exec, exec, s[0:1]
	global_load_ushort v5, v[2:3], off offset:2
	v_mov_b32_e32 v6, 0
	v_mov_b32_e32 v7, 0
	s_and_saveexec_b64 s[0:1], s[24:25]
	s_cbranch_execz .LBB24_11
; %bb.10:                               ;   in Loop: Header=BB24_7 Depth=2
	buffer_load_dword v7, off, s[96:99], 0 offset:20 ; 4-byte Folded Reload
	buffer_load_dword v8, off, s[96:99], 0 offset:24 ; 4-byte Folded Reload
	s_waitcnt vmcnt(1)
	v_add_co_u32_e32 v7, vcc, v61, v7
	s_waitcnt vmcnt(0)
	v_addc_co_u32_e32 v8, vcc, v4, v8, vcc
	global_load_ushort v7, v[7:8], off
	s_waitcnt vmcnt(0)
	v_cvt_f32_f16_e32 v7, v7
.LBB24_11:                              ;   in Loop: Header=BB24_7 Depth=2
	s_or_b64 exec, exec, s[0:1]
	global_load_ushort v0, v[2:3], off offset:4
	s_and_saveexec_b64 s[0:1], s[26:27]
	s_cbranch_execz .LBB24_13
; %bb.12:                               ;   in Loop: Header=BB24_7 Depth=2
	buffer_load_dword v9, off, s[96:99], 0 offset:28 ; 4-byte Folded Reload
	buffer_load_dword v10, off, s[96:99], 0 offset:32 ; 4-byte Folded Reload
	s_waitcnt vmcnt(1)
	v_add_co_u32_e32 v9, vcc, v61, v9
	s_waitcnt vmcnt(0)
	v_addc_co_u32_e32 v10, vcc, v4, v10, vcc
	global_load_ushort v6, v[9:10], off
	s_waitcnt vmcnt(0)
	v_cvt_f32_f16_e32 v6, v6
.LBB24_13:                              ;   in Loop: Header=BB24_7 Depth=2
	s_or_b64 exec, exec, s[0:1]
	global_load_ushort v57, v[2:3], off offset:6
	v_mov_b32_e32 v10, 0
	v_mov_b32_e32 v11, 0
	s_and_saveexec_b64 s[0:1], s[62:63]
	s_cbranch_execz .LBB24_15
; %bb.14:                               ;   in Loop: Header=BB24_7 Depth=2
	buffer_load_dword v11, off, s[96:99], 0 offset:36 ; 4-byte Folded Reload
	buffer_load_dword v12, off, s[96:99], 0 offset:40 ; 4-byte Folded Reload
	s_waitcnt vmcnt(1)
	v_add_co_u32_e32 v11, vcc, v61, v11
	s_waitcnt vmcnt(0)
	v_addc_co_u32_e32 v12, vcc, v4, v12, vcc
	global_load_ushort v11, v[11:12], off
	s_waitcnt vmcnt(0)
	v_cvt_f32_f16_e32 v11, v11
.LBB24_15:                              ;   in Loop: Header=BB24_7 Depth=2
	s_or_b64 exec, exec, s[0:1]
	global_load_ushort v12, v[2:3], off offset:8
	s_and_saveexec_b64 s[0:1], s[64:65]
	s_cbranch_execz .LBB24_17
; %bb.16:                               ;   in Loop: Header=BB24_7 Depth=2
	buffer_load_dword v13, off, s[96:99], 0 offset:44 ; 4-byte Folded Reload
	buffer_load_dword v14, off, s[96:99], 0 offset:48 ; 4-byte Folded Reload
	s_waitcnt vmcnt(1)
	v_add_co_u32_e32 v13, vcc, v61, v13
	s_waitcnt vmcnt(0)
	v_addc_co_u32_e32 v14, vcc, v4, v14, vcc
	global_load_ushort v10, v[13:14], off
	s_waitcnt vmcnt(0)
	v_cvt_f32_f16_e32 v10, v10
.LBB24_17:                              ;   in Loop: Header=BB24_7 Depth=2
	;; [unrolled: 32-line block ×12, first 2 shown]
	s_or_b64 exec, exec, s[0:1]
	global_load_ushort v53, v[2:3], off offset:50
	v_mov_b32_e32 v54, 0
	v_mov_b32_e32 v55, 0
	s_and_saveexec_b64 s[0:1], s[8:9]
	s_cbranch_execz .LBB24_59
; %bb.58:                               ;   in Loop: Header=BB24_7 Depth=2
	buffer_load_dword v55, off, s[96:99], 0 offset:212 ; 4-byte Folded Reload
	buffer_load_dword v56, off, s[96:99], 0 offset:216 ; 4-byte Folded Reload
	s_waitcnt vmcnt(1)
	v_add_co_u32_e32 v55, vcc, v61, v55
	s_waitcnt vmcnt(0)
	v_addc_co_u32_e32 v56, vcc, v4, v56, vcc
	global_load_ushort v55, v[55:56], off
	s_waitcnt vmcnt(0)
	v_cvt_f32_f16_e32 v55, v55
.LBB24_59:                              ;   in Loop: Header=BB24_7 Depth=2
	s_or_b64 exec, exec, s[0:1]
	global_load_ushort v56, v[2:3], off offset:52
	s_and_saveexec_b64 s[0:1], s[6:7]
	s_cbranch_execz .LBB24_6
; %bb.60:                               ;   in Loop: Header=BB24_7 Depth=2
	buffer_load_dword v8, off, s[96:99], 0 offset:220 ; 4-byte Folded Reload
	buffer_load_dword v9, off, s[96:99], 0 offset:224 ; 4-byte Folded Reload
	v_mov_b32_e32 v54, v62
	s_waitcnt vmcnt(1)
	v_add_co_u32_e32 v61, vcc, v61, v8
	s_waitcnt vmcnt(0)
	v_addc_co_u32_e32 v62, vcc, v4, v9, vcc
	global_load_ushort v4, v[61:62], off
	v_mov_b32_e32 v62, v54
	s_waitcnt vmcnt(0)
	v_cvt_f32_f16_e32 v54, v4
	s_branch .LBB24_6
.LBB24_61:                              ;   in Loop: Header=BB24_4 Depth=1
	v_mov_b32_e32 v0, 0
	s_branch .LBB24_3
.LBB24_62:
	s_endpgm
	.section	.rodata,"a",@progbits
	.p2align	6, 0x0
	.amdhsa_kernel _ZN2at6native12_GLOBAL__N_143conv_depthwise3d_cuda_backward_input_kernelIN3c104HalfEfLi3ELi3ELi3ELin1ELin1ELin1ELi1ELi1ELi1EEEvN5torch10headeronly6detail27GenericPackedTensorAccessorINS7_14TensorAccessorINS3_8ArrayRefIlEEKT_Lm4ENS6_16DefaultPtrTraitsEiEENS_6detail16IndexBoundsCheckILm5EiEESD_Lm5ESE_iEENS8_INS9_ISB_SC_Lm4ESE_iEESI_SC_Lm5ESE_iEESJ_iiiiiiiii
		.amdhsa_group_segment_fixed_size 0
		.amdhsa_private_segment_fixed_size 276
		.amdhsa_kernarg_size 440
		.amdhsa_user_sgpr_count 6
		.amdhsa_user_sgpr_private_segment_buffer 1
		.amdhsa_user_sgpr_dispatch_ptr 0
		.amdhsa_user_sgpr_queue_ptr 0
		.amdhsa_user_sgpr_kernarg_segment_ptr 1
		.amdhsa_user_sgpr_dispatch_id 0
		.amdhsa_user_sgpr_flat_scratch_init 0
		.amdhsa_user_sgpr_private_segment_size 0
		.amdhsa_uses_dynamic_stack 0
		.amdhsa_system_sgpr_private_segment_wavefront_offset 1
		.amdhsa_system_sgpr_workgroup_id_x 1
		.amdhsa_system_sgpr_workgroup_id_y 0
		.amdhsa_system_sgpr_workgroup_id_z 0
		.amdhsa_system_sgpr_workgroup_info 0
		.amdhsa_system_vgpr_workitem_id 0
		.amdhsa_next_free_vgpr 64
		.amdhsa_next_free_sgpr 100
		.amdhsa_reserve_vcc 1
		.amdhsa_reserve_flat_scratch 0
		.amdhsa_float_round_mode_32 0
		.amdhsa_float_round_mode_16_64 0
		.amdhsa_float_denorm_mode_32 3
		.amdhsa_float_denorm_mode_16_64 3
		.amdhsa_dx10_clamp 1
		.amdhsa_ieee_mode 1
		.amdhsa_fp16_overflow 0
		.amdhsa_exception_fp_ieee_invalid_op 0
		.amdhsa_exception_fp_denorm_src 0
		.amdhsa_exception_fp_ieee_div_zero 0
		.amdhsa_exception_fp_ieee_overflow 0
		.amdhsa_exception_fp_ieee_underflow 0
		.amdhsa_exception_fp_ieee_inexact 0
		.amdhsa_exception_int_div_zero 0
	.end_amdhsa_kernel
	.section	.text._ZN2at6native12_GLOBAL__N_143conv_depthwise3d_cuda_backward_input_kernelIN3c104HalfEfLi3ELi3ELi3ELin1ELin1ELin1ELi1ELi1ELi1EEEvN5torch10headeronly6detail27GenericPackedTensorAccessorINS7_14TensorAccessorINS3_8ArrayRefIlEEKT_Lm4ENS6_16DefaultPtrTraitsEiEENS_6detail16IndexBoundsCheckILm5EiEESD_Lm5ESE_iEENS8_INS9_ISB_SC_Lm4ESE_iEESI_SC_Lm5ESE_iEESJ_iiiiiiiii,"axG",@progbits,_ZN2at6native12_GLOBAL__N_143conv_depthwise3d_cuda_backward_input_kernelIN3c104HalfEfLi3ELi3ELi3ELin1ELin1ELin1ELi1ELi1ELi1EEEvN5torch10headeronly6detail27GenericPackedTensorAccessorINS7_14TensorAccessorINS3_8ArrayRefIlEEKT_Lm4ENS6_16DefaultPtrTraitsEiEENS_6detail16IndexBoundsCheckILm5EiEESD_Lm5ESE_iEENS8_INS9_ISB_SC_Lm4ESE_iEESI_SC_Lm5ESE_iEESJ_iiiiiiiii,comdat
.Lfunc_end24:
	.size	_ZN2at6native12_GLOBAL__N_143conv_depthwise3d_cuda_backward_input_kernelIN3c104HalfEfLi3ELi3ELi3ELin1ELin1ELin1ELi1ELi1ELi1EEEvN5torch10headeronly6detail27GenericPackedTensorAccessorINS7_14TensorAccessorINS3_8ArrayRefIlEEKT_Lm4ENS6_16DefaultPtrTraitsEiEENS_6detail16IndexBoundsCheckILm5EiEESD_Lm5ESE_iEENS8_INS9_ISB_SC_Lm4ESE_iEESI_SC_Lm5ESE_iEESJ_iiiiiiiii, .Lfunc_end24-_ZN2at6native12_GLOBAL__N_143conv_depthwise3d_cuda_backward_input_kernelIN3c104HalfEfLi3ELi3ELi3ELin1ELin1ELin1ELi1ELi1ELi1EEEvN5torch10headeronly6detail27GenericPackedTensorAccessorINS7_14TensorAccessorINS3_8ArrayRefIlEEKT_Lm4ENS6_16DefaultPtrTraitsEiEENS_6detail16IndexBoundsCheckILm5EiEESD_Lm5ESE_iEENS8_INS9_ISB_SC_Lm4ESE_iEESI_SC_Lm5ESE_iEESJ_iiiiiiiii
                                        ; -- End function
	.set _ZN2at6native12_GLOBAL__N_143conv_depthwise3d_cuda_backward_input_kernelIN3c104HalfEfLi3ELi3ELi3ELin1ELin1ELin1ELi1ELi1ELi1EEEvN5torch10headeronly6detail27GenericPackedTensorAccessorINS7_14TensorAccessorINS3_8ArrayRefIlEEKT_Lm4ENS6_16DefaultPtrTraitsEiEENS_6detail16IndexBoundsCheckILm5EiEESD_Lm5ESE_iEENS8_INS9_ISB_SC_Lm4ESE_iEESI_SC_Lm5ESE_iEESJ_iiiiiiiii.num_vgpr, 64
	.set _ZN2at6native12_GLOBAL__N_143conv_depthwise3d_cuda_backward_input_kernelIN3c104HalfEfLi3ELi3ELi3ELin1ELin1ELin1ELi1ELi1ELi1EEEvN5torch10headeronly6detail27GenericPackedTensorAccessorINS7_14TensorAccessorINS3_8ArrayRefIlEEKT_Lm4ENS6_16DefaultPtrTraitsEiEENS_6detail16IndexBoundsCheckILm5EiEESD_Lm5ESE_iEENS8_INS9_ISB_SC_Lm4ESE_iEESI_SC_Lm5ESE_iEESJ_iiiiiiiii.num_agpr, 0
	.set _ZN2at6native12_GLOBAL__N_143conv_depthwise3d_cuda_backward_input_kernelIN3c104HalfEfLi3ELi3ELi3ELin1ELin1ELin1ELi1ELi1ELi1EEEvN5torch10headeronly6detail27GenericPackedTensorAccessorINS7_14TensorAccessorINS3_8ArrayRefIlEEKT_Lm4ENS6_16DefaultPtrTraitsEiEENS_6detail16IndexBoundsCheckILm5EiEESD_Lm5ESE_iEENS8_INS9_ISB_SC_Lm4ESE_iEESI_SC_Lm5ESE_iEESJ_iiiiiiiii.numbered_sgpr, 100
	.set _ZN2at6native12_GLOBAL__N_143conv_depthwise3d_cuda_backward_input_kernelIN3c104HalfEfLi3ELi3ELi3ELin1ELin1ELin1ELi1ELi1ELi1EEEvN5torch10headeronly6detail27GenericPackedTensorAccessorINS7_14TensorAccessorINS3_8ArrayRefIlEEKT_Lm4ENS6_16DefaultPtrTraitsEiEENS_6detail16IndexBoundsCheckILm5EiEESD_Lm5ESE_iEENS8_INS9_ISB_SC_Lm4ESE_iEESI_SC_Lm5ESE_iEESJ_iiiiiiiii.num_named_barrier, 0
	.set _ZN2at6native12_GLOBAL__N_143conv_depthwise3d_cuda_backward_input_kernelIN3c104HalfEfLi3ELi3ELi3ELin1ELin1ELin1ELi1ELi1ELi1EEEvN5torch10headeronly6detail27GenericPackedTensorAccessorINS7_14TensorAccessorINS3_8ArrayRefIlEEKT_Lm4ENS6_16DefaultPtrTraitsEiEENS_6detail16IndexBoundsCheckILm5EiEESD_Lm5ESE_iEENS8_INS9_ISB_SC_Lm4ESE_iEESI_SC_Lm5ESE_iEESJ_iiiiiiiii.private_seg_size, 276
	.set _ZN2at6native12_GLOBAL__N_143conv_depthwise3d_cuda_backward_input_kernelIN3c104HalfEfLi3ELi3ELi3ELin1ELin1ELin1ELi1ELi1ELi1EEEvN5torch10headeronly6detail27GenericPackedTensorAccessorINS7_14TensorAccessorINS3_8ArrayRefIlEEKT_Lm4ENS6_16DefaultPtrTraitsEiEENS_6detail16IndexBoundsCheckILm5EiEESD_Lm5ESE_iEENS8_INS9_ISB_SC_Lm4ESE_iEESI_SC_Lm5ESE_iEESJ_iiiiiiiii.uses_vcc, 1
	.set _ZN2at6native12_GLOBAL__N_143conv_depthwise3d_cuda_backward_input_kernelIN3c104HalfEfLi3ELi3ELi3ELin1ELin1ELin1ELi1ELi1ELi1EEEvN5torch10headeronly6detail27GenericPackedTensorAccessorINS7_14TensorAccessorINS3_8ArrayRefIlEEKT_Lm4ENS6_16DefaultPtrTraitsEiEENS_6detail16IndexBoundsCheckILm5EiEESD_Lm5ESE_iEENS8_INS9_ISB_SC_Lm4ESE_iEESI_SC_Lm5ESE_iEESJ_iiiiiiiii.uses_flat_scratch, 0
	.set _ZN2at6native12_GLOBAL__N_143conv_depthwise3d_cuda_backward_input_kernelIN3c104HalfEfLi3ELi3ELi3ELin1ELin1ELin1ELi1ELi1ELi1EEEvN5torch10headeronly6detail27GenericPackedTensorAccessorINS7_14TensorAccessorINS3_8ArrayRefIlEEKT_Lm4ENS6_16DefaultPtrTraitsEiEENS_6detail16IndexBoundsCheckILm5EiEESD_Lm5ESE_iEENS8_INS9_ISB_SC_Lm4ESE_iEESI_SC_Lm5ESE_iEESJ_iiiiiiiii.has_dyn_sized_stack, 0
	.set _ZN2at6native12_GLOBAL__N_143conv_depthwise3d_cuda_backward_input_kernelIN3c104HalfEfLi3ELi3ELi3ELin1ELin1ELin1ELi1ELi1ELi1EEEvN5torch10headeronly6detail27GenericPackedTensorAccessorINS7_14TensorAccessorINS3_8ArrayRefIlEEKT_Lm4ENS6_16DefaultPtrTraitsEiEENS_6detail16IndexBoundsCheckILm5EiEESD_Lm5ESE_iEENS8_INS9_ISB_SC_Lm4ESE_iEESI_SC_Lm5ESE_iEESJ_iiiiiiiii.has_recursion, 0
	.set _ZN2at6native12_GLOBAL__N_143conv_depthwise3d_cuda_backward_input_kernelIN3c104HalfEfLi3ELi3ELi3ELin1ELin1ELin1ELi1ELi1ELi1EEEvN5torch10headeronly6detail27GenericPackedTensorAccessorINS7_14TensorAccessorINS3_8ArrayRefIlEEKT_Lm4ENS6_16DefaultPtrTraitsEiEENS_6detail16IndexBoundsCheckILm5EiEESD_Lm5ESE_iEENS8_INS9_ISB_SC_Lm4ESE_iEESI_SC_Lm5ESE_iEESJ_iiiiiiiii.has_indirect_call, 0
	.section	.AMDGPU.csdata,"",@progbits
; Kernel info:
; codeLenInByte = 5748
; TotalNumSgprs: 104
; NumVgprs: 64
; ScratchSize: 276
; MemoryBound: 0
; FloatMode: 240
; IeeeMode: 1
; LDSByteSize: 0 bytes/workgroup (compile time only)
; SGPRBlocks: 12
; VGPRBlocks: 15
; NumSGPRsForWavesPerEU: 104
; NumVGPRsForWavesPerEU: 64
; Occupancy: 4
; WaveLimiterHint : 0
; COMPUTE_PGM_RSRC2:SCRATCH_EN: 1
; COMPUTE_PGM_RSRC2:USER_SGPR: 6
; COMPUTE_PGM_RSRC2:TRAP_HANDLER: 0
; COMPUTE_PGM_RSRC2:TGID_X_EN: 1
; COMPUTE_PGM_RSRC2:TGID_Y_EN: 0
; COMPUTE_PGM_RSRC2:TGID_Z_EN: 0
; COMPUTE_PGM_RSRC2:TIDIG_COMP_CNT: 0
	.section	.text._ZN2at6native12_GLOBAL__N_143conv_depthwise3d_cuda_backward_input_kernelIN3c104HalfEfLi3ELi3ELi3ELin1ELin1ELin1ELin1ELin1ELin1EEEvN5torch10headeronly6detail27GenericPackedTensorAccessorINS7_14TensorAccessorINS3_8ArrayRefIlEEKT_Lm4ENS6_16DefaultPtrTraitsEiEENS_6detail16IndexBoundsCheckILm5EiEESD_Lm5ESE_iEENS8_INS9_ISB_SC_Lm4ESE_iEESI_SC_Lm5ESE_iEESJ_iiiiiiiii,"axG",@progbits,_ZN2at6native12_GLOBAL__N_143conv_depthwise3d_cuda_backward_input_kernelIN3c104HalfEfLi3ELi3ELi3ELin1ELin1ELin1ELin1ELin1ELin1EEEvN5torch10headeronly6detail27GenericPackedTensorAccessorINS7_14TensorAccessorINS3_8ArrayRefIlEEKT_Lm4ENS6_16DefaultPtrTraitsEiEENS_6detail16IndexBoundsCheckILm5EiEESD_Lm5ESE_iEENS8_INS9_ISB_SC_Lm4ESE_iEESI_SC_Lm5ESE_iEESJ_iiiiiiiii,comdat
	.globl	_ZN2at6native12_GLOBAL__N_143conv_depthwise3d_cuda_backward_input_kernelIN3c104HalfEfLi3ELi3ELi3ELin1ELin1ELin1ELin1ELin1ELin1EEEvN5torch10headeronly6detail27GenericPackedTensorAccessorINS7_14TensorAccessorINS3_8ArrayRefIlEEKT_Lm4ENS6_16DefaultPtrTraitsEiEENS_6detail16IndexBoundsCheckILm5EiEESD_Lm5ESE_iEENS8_INS9_ISB_SC_Lm4ESE_iEESI_SC_Lm5ESE_iEESJ_iiiiiiiii ; -- Begin function _ZN2at6native12_GLOBAL__N_143conv_depthwise3d_cuda_backward_input_kernelIN3c104HalfEfLi3ELi3ELi3ELin1ELin1ELin1ELin1ELin1ELin1EEEvN5torch10headeronly6detail27GenericPackedTensorAccessorINS7_14TensorAccessorINS3_8ArrayRefIlEEKT_Lm4ENS6_16DefaultPtrTraitsEiEENS_6detail16IndexBoundsCheckILm5EiEESD_Lm5ESE_iEENS8_INS9_ISB_SC_Lm4ESE_iEESI_SC_Lm5ESE_iEESJ_iiiiiiiii
	.p2align	8
	.type	_ZN2at6native12_GLOBAL__N_143conv_depthwise3d_cuda_backward_input_kernelIN3c104HalfEfLi3ELi3ELi3ELin1ELin1ELin1ELin1ELin1ELin1EEEvN5torch10headeronly6detail27GenericPackedTensorAccessorINS7_14TensorAccessorINS3_8ArrayRefIlEEKT_Lm4ENS6_16DefaultPtrTraitsEiEENS_6detail16IndexBoundsCheckILm5EiEESD_Lm5ESE_iEENS8_INS9_ISB_SC_Lm4ESE_iEESI_SC_Lm5ESE_iEESJ_iiiiiiiii,@function
_ZN2at6native12_GLOBAL__N_143conv_depthwise3d_cuda_backward_input_kernelIN3c104HalfEfLi3ELi3ELi3ELin1ELin1ELin1ELin1ELin1ELin1EEEvN5torch10headeronly6detail27GenericPackedTensorAccessorINS7_14TensorAccessorINS3_8ArrayRefIlEEKT_Lm4ENS6_16DefaultPtrTraitsEiEENS_6detail16IndexBoundsCheckILm5EiEESD_Lm5ESE_iEENS8_INS9_ISB_SC_Lm4ESE_iEESI_SC_Lm5ESE_iEESJ_iiiiiiiii: ; @_ZN2at6native12_GLOBAL__N_143conv_depthwise3d_cuda_backward_input_kernelIN3c104HalfEfLi3ELi3ELi3ELin1ELin1ELin1ELin1ELin1ELin1EEEvN5torch10headeronly6detail27GenericPackedTensorAccessorINS7_14TensorAccessorINS3_8ArrayRefIlEEKT_Lm4ENS6_16DefaultPtrTraitsEiEENS_6detail16IndexBoundsCheckILm5EiEESD_Lm5ESE_iEENS8_INS9_ISB_SC_Lm4ESE_iEESI_SC_Lm5ESE_iEESJ_iiiiiiiii
; %bb.0:
	s_load_dwordx4 s[8:11], s[4:5], 0x38
	s_load_dwordx2 s[16:17], s[4:5], 0x48
	s_mov_b64 s[98:99], s[2:3]
	s_mov_b64 s[96:97], s[0:1]
	s_add_u32 s96, s96, s7
	s_addc_u32 s97, s97, 0
	s_waitcnt lgkmcnt(0)
	s_abs_i32 s0, s9
	v_cvt_f32_u32_e32 v2, s0
	s_load_dword s2, s[4:5], 0xc4
                                        ; implicit-def: $vgpr62 : SGPR spill to VGPR lane
	v_mov_b32_e32 v1, 0
	v_writelane_b32 v62, s0, 0
	v_rcp_iflag_f32_e32 v2, v2
	s_add_u32 s0, s4, 0xb8
	v_mov_b32_e32 v3, s6
	s_addc_u32 s1, s5, 0
	s_waitcnt lgkmcnt(0)
	s_and_b32 s2, s2, 0xffff
	v_mul_f32_e32 v2, 0x4f7ffffe, v2
	v_mad_u64_u32 v[3:4], s[6:7], s2, v3, v[0:1]
	v_writelane_b32 v62, s8, 1
	v_cvt_u32_f32_e32 v0, v2
	v_writelane_b32 v62, s9, 2
	v_writelane_b32 v62, s10, 3
	s_mul_i32 s6, s17, s8
	v_writelane_b32 v62, s11, 4
	s_ashr_i32 s7, s6, 31
	v_writelane_b32 v62, s6, 5
	v_cmp_gt_i64_e32 vcc, s[6:7], v[3:4]
	v_writelane_b32 v62, s7, 6
	v_readfirstlane_b32 s3, v0
	s_and_saveexec_b64 s[6:7], vcc
	s_cbranch_execz .LBB25_63
; %bb.1:
	s_load_dwordx2 s[8:9], s[4:5], 0x0
	s_load_dwordx4 s[20:23], s[4:5], 0xc
	s_load_dwordx4 s[12:15], s[4:5], 0x38
	v_readlane_b32 s11, v62, 0
	s_sub_i32 s6, 0, s11
                                        ; kill: killed $sgpr0 killed $sgpr1
	v_mov_b32_e32 v7, v4
	s_waitcnt lgkmcnt(0)
	v_writelane_b32 v62, s8, 7
	v_writelane_b32 v62, s9, 8
	s_mul_i32 s9, s6, s3
	s_mul_hi_u32 s9, s3, s9
	s_ashr_i32 s7, s20, 31
	v_writelane_b32 v62, s20, 9
	s_abs_i32 s8, s20
	s_add_i32 s3, s3, s9
	v_writelane_b32 v62, s21, 10
	s_mul_hi_u32 s3, s8, s3
	v_writelane_b32 v62, s22, 11
	s_mul_i32 s9, s3, s11
	s_ashr_i32 s10, s13, 31
	v_writelane_b32 v62, s23, 12
	s_sub_i32 s8, s8, s9
	v_writelane_b32 v62, s10, 13
	s_xor_b32 s7, s7, s10
	s_add_i32 s9, s3, 1
	s_sub_i32 s10, s8, s11
	s_cmp_ge_u32 s8, s11
	s_cselect_b32 s3, s9, s3
	s_cselect_b32 s8, s10, s8
	s_add_i32 s9, s3, 1
	s_cmp_ge_u32 s8, s11
	s_cselect_b32 s3, s9, s3
	s_xor_b32 s3, s3, s7
	s_load_dwordx8 s[20:27], s[4:5], 0x90
	s_load_dword s12, s[4:5], 0xb0
	s_sub_i32 s7, s3, s7
	s_load_dword s3, s[0:1], 0x0
	s_load_dword s8, s[4:5], 0x7c
	s_cmp_gt_i32 s7, 0
	s_cselect_b64 s[0:1], -1, 0
                                        ; kill: killed $sgpr4 killed $sgpr5
	v_mov_b32_e32 v6, v3
	s_waitcnt lgkmcnt(0)
	s_mul_i32 s2, s3, s2
	v_writelane_b32 v62, s8, 14
	s_load_dwordx2 s[70:71], s[4:5], 0x1c
	s_load_dwordx2 s[8:9], s[4:5], 0x30
	s_abs_i32 s3, s15
	v_cvt_f32_u32_e32 v2, s3
	s_abs_i32 s33, s22
	s_waitcnt lgkmcnt(0)
	v_writelane_b32 v62, s8, 15
	v_writelane_b32 v62, s9, 16
	s_load_dwordx2 s[8:9], s[4:5], 0x60
	v_writelane_b32 v62, s7, 17
	s_abs_i32 s7, s16
	v_cvt_f32_u32_e32 v1, s7
	v_rcp_iflag_f32_e32 v2, v2
	s_waitcnt lgkmcnt(0)
	v_writelane_b32 v62, s8, 18
	v_writelane_b32 v62, s9, 19
	s_load_dwordx4 s[8:11], s[4:5], 0x50
	v_rcp_iflag_f32_e32 v1, v1
	s_abs_i32 s4, s14
	v_cvt_f32_u32_e32 v4, s4
	v_mul_f32_e32 v2, 0x4f7ffffe, v2
	s_waitcnt lgkmcnt(0)
	v_writelane_b32 v62, s8, 20
	v_writelane_b32 v62, s9, 21
	;; [unrolled: 1-line block ×6, first 2 shown]
	s_lshl_b32 s2, s12, 1
	v_mul_f32_e32 v1, 0x4f7ffffe, v1
	v_writelane_b32 v62, s2, 26
	s_lshl_b32 s2, s27, 1
	v_cvt_u32_f32_e32 v1, v1
	v_writelane_b32 v62, s2, 27
	s_lshl_b32 s2, s26, 1
	v_writelane_b32 v62, s2, 28
	s_ashr_i32 s2, s16, 31
	v_writelane_b32 v62, s2, 29
	s_sub_i32 s2, 0, s7
	v_mul_lo_u32 v3, s2, v1
	v_cvt_u32_f32_e32 v2, v2
	v_rcp_iflag_f32_e32 v4, v4
	s_sub_i32 s2, 0, s3
	v_mul_hi_u32 v3, v1, v3
	v_writelane_b32 v62, s7, 30
	v_writelane_b32 v62, s3, 31
	s_ashr_i32 s3, s14, 31
	v_add_u32_e32 v1, v1, v3
	buffer_store_dword v1, off, s[96:99], 0 offset:260 ; 4-byte Folded Spill
	v_mul_lo_u32 v1, s2, v2
	v_mul_f32_e32 v3, 0x4f7ffffe, v4
	v_cvt_u32_f32_e32 v3, v3
	s_ashr_i32 s2, s15, 31
	v_writelane_b32 v62, s2, 32
	v_mul_hi_u32 v1, v2, v1
	s_sub_i32 s2, 0, s4
	v_mul_lo_u32 v4, s2, v3
	s_abs_i32 s2, s20
	v_cvt_f32_u32_e32 v5, s2
	v_add_u32_e32 v1, v2, v1
	buffer_store_dword v1, off, s[96:99], 0 offset:264 ; 4-byte Folded Spill
	v_mul_hi_u32 v1, v3, v4
	v_mul_lo_u32 v2, s6, v0
	v_rcp_iflag_f32_e32 v4, v5
	v_writelane_b32 v62, s4, 33
	v_writelane_b32 v62, s3, 34
	v_add_u32_e32 v1, v3, v1
	s_abs_i32 s3, s21
	buffer_store_dword v1, off, s[96:99], 0 offset:268 ; 4-byte Folded Spill
	v_mul_hi_u32 v1, v0, v2
	v_cvt_f32_u32_e32 v3, s3
	v_mul_f32_e32 v2, 0x4f7ffffe, v4
	v_cvt_f32_u32_e32 v4, s33
	v_add_u32_e32 v0, v0, v1
	v_rcp_iflag_f32_e32 v3, v3
	buffer_store_dword v0, off, s[96:99], 0 offset:272 ; 4-byte Folded Spill
	v_rcp_iflag_f32_e32 v0, v4
	v_cvt_u32_f32_e32 v2, v2
	v_mul_f32_e32 v3, 0x4f7ffffe, v3
	v_writelane_b32 v62, s2, 35
	s_sub_i32 s2, 0, s2
	v_cvt_u32_f32_e32 v3, v3
	v_mul_f32_e32 v0, 0x4f7ffffe, v0
	v_mul_lo_u32 v5, s2, v2
	v_cvt_u32_f32_e32 v0, v0
	s_sub_i32 s2, 0, s3
	v_mul_lo_u32 v4, s2, v3
	s_sub_i32 s2, 0, s33
	v_mul_hi_u32 v1, v2, v5
	v_writelane_b32 v62, s3, 36
	v_mul_lo_u32 v5, s2, v0
	s_ashr_i32 s2, s20, 31
	v_writelane_b32 v62, s2, 37
	s_ashr_i32 s2, s21, 31
	v_writelane_b32 v62, s2, 38
	v_writelane_b32 v62, s20, 39
	v_add_u32_e32 v1, v2, v1
	v_writelane_b32 v62, s21, 40
	buffer_store_dword v1, off, s[96:99], 0 offset:276 ; 4-byte Folded Spill
	v_mul_hi_u32 v1, v0, v5
	v_writelane_b32 v62, s22, 41
	v_writelane_b32 v62, s23, 42
	;; [unrolled: 1-line block ×5, first 2 shown]
	v_add_u32_e32 v0, v0, v1
	v_mul_hi_u32 v4, v3, v4
	v_writelane_b32 v62, s27, 46
	s_ashr_i32 s2, s22, 31
	buffer_store_dword v0, off, s[96:99], 0 offset:284 ; 4-byte Folded Spill
	v_cndmask_b32_e64 v0, 0, 1, s[0:1]
	v_writelane_b32 v62, s2, 47
	v_cmp_ne_u32_e64 s[0:1], 1, v0
	v_writelane_b32 v62, s0, 48
	v_writelane_b32 v62, s1, 49
	v_add_u32_e32 v2, v3, v4
	v_mov_b32_e32 v3, v6
	v_writelane_b32 v62, s16, 50
	v_mov_b32_e32 v4, v7
	s_mov_b64 s[8:9], 0
	v_writelane_b32 v62, s17, 51
	buffer_store_dword v2, off, s[96:99], 0 offset:280 ; 4-byte Folded Spill
.LBB25_2:                               ; =>This Loop Header: Depth=1
                                        ;     Child Loop BB25_5 Depth 2
	buffer_load_dword v1, off, s[96:99], 0 offset:260 ; 4-byte Folded Reload
	v_sub_u32_e32 v0, 0, v3
	v_max_i32_e32 v0, v3, v0
	v_writelane_b32 v62, s8, 52
	v_writelane_b32 v62, s9, 53
	v_readlane_b32 s0, v62, 30
	v_mov_b32_e32 v9, v4
	v_mov_b32_e32 v8, v3
	v_ashrrev_i32_e32 v3, 31, v8
	v_readlane_b32 s1, v62, 29
	v_xor_b32_e32 v3, s1, v3
	v_readlane_b32 s1, v62, 32
	s_waitcnt vmcnt(0)
	v_mul_hi_u32 v1, v0, v1
	v_mul_lo_u32 v2, v1, s0
	v_add_u32_e32 v4, 1, v1
	v_sub_u32_e32 v0, v0, v2
	v_cmp_le_u32_e32 vcc, s0, v0
	v_subrev_u32_e32 v2, s0, v0
	v_cndmask_b32_e32 v1, v1, v4, vcc
	v_cndmask_b32_e32 v0, v0, v2, vcc
	v_add_u32_e32 v2, 1, v1
	v_cmp_le_u32_e32 vcc, s0, v0
	v_cndmask_b32_e32 v0, v1, v2, vcc
	buffer_load_dword v2, off, s[96:99], 0 offset:264 ; 4-byte Folded Reload
	v_xor_b32_e32 v0, v0, v3
	v_sub_u32_e32 v0, v0, v3
	v_sub_u32_e32 v1, 0, v0
	v_max_i32_e32 v1, v0, v1
	v_readlane_b32 s0, v62, 31
	v_ashrrev_i32_e32 v4, 31, v0
	v_xor_b32_e32 v4, s1, v4
	v_readlane_b32 s1, v62, 34
	s_waitcnt vmcnt(0)
	v_mul_hi_u32 v2, v1, v2
	v_mul_lo_u32 v3, v2, s0
	v_add_u32_e32 v5, 1, v2
	v_sub_u32_e32 v1, v1, v3
	v_cmp_le_u32_e32 vcc, s0, v1
	v_subrev_u32_e32 v3, s0, v1
	v_cndmask_b32_e32 v2, v2, v5, vcc
	v_cndmask_b32_e32 v1, v1, v3, vcc
	v_add_u32_e32 v3, 1, v2
	v_cmp_le_u32_e32 vcc, s0, v1
	v_cndmask_b32_e32 v1, v2, v3, vcc
	buffer_load_dword v3, off, s[96:99], 0 offset:268 ; 4-byte Folded Reload
	v_xor_b32_e32 v1, v1, v4
	v_sub_u32_e32 v1, v1, v4
	v_sub_u32_e32 v2, 0, v1
	v_max_i32_e32 v2, v1, v2
	v_readlane_b32 s0, v62, 33
	v_ashrrev_i32_e32 v6, 31, v1
	v_xor_b32_e32 v6, s1, v6
	v_mul_lo_u32 v4, v0, s16
	s_waitcnt vmcnt(0)
	v_mul_hi_u32 v3, v2, v3
	v_mul_lo_u32 v5, v3, s0
	v_add_u32_e32 v7, 1, v3
	v_sub_u32_e32 v2, v2, v5
	v_cmp_le_u32_e32 vcc, s0, v2
	v_subrev_u32_e32 v5, s0, v2
	v_cndmask_b32_e32 v3, v3, v7, vcc
	v_cndmask_b32_e32 v2, v2, v5, vcc
	v_add_u32_e32 v5, 1, v3
	v_cmp_le_u32_e32 vcc, s0, v2
	v_cndmask_b32_e32 v2, v3, v5, vcc
	buffer_load_dword v5, off, s[96:99], 0 offset:272 ; 4-byte Folded Reload
	s_nop 0
	buffer_store_dword v8, off, s[96:99], 0 offset:232 ; 4-byte Folded Spill
	s_nop 0
	buffer_store_dword v9, off, s[96:99], 0 offset:236 ; 4-byte Folded Spill
	v_xor_b32_e32 v2, v2, v6
	v_sub_u32_e32 v2, v2, v6
	v_sub_u32_e32 v3, 0, v2
	v_max_i32_e32 v3, v2, v3
	v_readlane_b32 s0, v62, 1
	v_readlane_b32 s0, v62, 0
	v_readlane_b32 s2, v62, 3
	v_mul_lo_u32 v7, v2, s2
	v_readlane_b32 s2, v62, 13
	v_readlane_b32 s1, v62, 2
	;; [unrolled: 1-line block ×3, first 2 shown]
	v_sub_u32_e32 v7, v1, v7
	v_sub_u32_e32 v9, v8, v4
	s_waitcnt vmcnt(2)
	v_mul_hi_u32 v5, v3, v5
	v_ashrrev_i32_e32 v8, 31, v2
	v_xor_b32_e32 v8, s2, v8
	v_mul_lo_u32 v4, v1, s3
	v_mul_lo_u32 v6, v5, s0
	v_sub_u32_e32 v3, v3, v6
	v_add_u32_e32 v6, 1, v5
	v_cmp_le_u32_e32 vcc, s0, v3
	v_cndmask_b32_e32 v5, v5, v6, vcc
	v_subrev_u32_e32 v6, s0, v3
	v_cndmask_b32_e32 v3, v3, v6, vcc
	v_add_u32_e32 v6, 1, v5
	v_cmp_le_u32_e32 vcc, s0, v3
	v_cndmask_b32_e32 v3, v5, v6, vcc
	v_xor_b32_e32 v3, v3, v8
	v_sub_u32_e32 v5, v3, v8
	v_mul_lo_u32 v3, v5, s1
	v_readlane_b32 s0, v62, 48
	v_readlane_b32 s1, v62, 49
	v_sub_u32_e32 v8, v0, v4
	s_and_b64 vcc, exec, s[0:1]
	v_sub_u32_e32 v58, v2, v3
	s_cbranch_vccnz .LBB25_60
; %bb.3:                                ;   in Loop: Header=BB25_2 Depth=1
	buffer_load_dword v16, off, s[96:99], 0 offset:276 ; 4-byte Folded Reload
	buffer_load_dword v13, off, s[96:99], 0 offset:280 ; 4-byte Folded Reload
	;; [unrolled: 1-line block ×3, first 2 shown]
	v_readlane_b32 s52, v62, 39
	v_readlane_b32 s55, v62, 42
	buffer_store_dword v7, off, s[96:99], 0 offset:248 ; 4-byte Folded Spill
	v_add_u32_e32 v7, s55, v7
	v_sub_u32_e32 v0, 0, v7
	v_mul_lo_u32 v2, s70, v5
	v_max_i32_e32 v0, v7, v0
	v_readlane_b32 s0, v62, 7
	v_readlane_b32 s1, v62, 8
	buffer_store_dword v5, off, s[96:99], 0 offset:256 ; 4-byte Folded Spill
	v_ashrrev_i32_e32 v3, 31, v2
	v_mov_b32_e32 v5, s1
	v_readlane_b32 s1, v62, 35
	v_lshlrev_b64 v[2:3], 1, v[2:3]
	v_readlane_b32 s56, v62, 43
	buffer_store_dword v8, off, s[96:99], 0 offset:244 ; 4-byte Folded Spill
	v_add_u32_e32 v8, s56, v8
	v_add_co_u32_e32 v2, vcc, s0, v2
	buffer_store_dword v2, off, s[96:99], 0 offset:4 ; 4-byte Folded Spill
	v_addc_co_u32_e32 v2, vcc, v5, v3, vcc
	v_sub_u32_e32 v5, 0, v8
	v_readlane_b32 s57, v62, 44
	v_max_i32_e32 v5, v8, v5
	buffer_store_dword v9, off, s[96:99], 0 offset:240 ; 4-byte Folded Spill
	v_add_u32_e32 v1, s57, v9
	v_readlane_b32 s2, v62, 36
	buffer_store_dword v2, off, s[96:99], 0 offset:8 ; 4-byte Folded Spill
	v_ashrrev_i32_e32 v2, 31, v7
	v_readlane_b32 s50, v62, 37
	v_xor_b32_e32 v2, s50, v2
	v_readlane_b32 s3, v62, 38
	v_readlane_b32 s0, v62, 27
	v_subrev_u32_e32 v11, s0, v8
	v_readlane_b32 s6, v62, 47
	v_readlane_b32 s59, v62, 46
	v_subrev_u32_e32 v12, s59, v8
	;; [unrolled: 3-line block ×3, first 2 shown]
	s_mov_b64 s[58:59], s[70:71]
	v_readlane_b32 s68, v62, 9
	v_readlane_b32 s70, v62, 11
	v_readlane_b32 s71, v62, 12
	v_readlane_b32 s69, v62, 10
	v_readlane_b32 s53, v62, 40
	v_readlane_b32 s54, v62, 41
                                        ; implicit-def: $vgpr63 : SGPR spill to VGPR lane
	s_waitcnt vmcnt(8)
	v_mul_hi_u32 v4, v0, v16
	s_waitcnt vmcnt(7)
	v_mul_hi_u32 v9, v5, v13
	v_mul_lo_u32 v6, v4, s1
	v_add_u32_e32 v3, 1, v4
	v_sub_u32_e32 v0, v0, v6
	v_cmp_le_u32_e32 vcc, s1, v0
	v_cndmask_b32_e32 v3, v4, v3, vcc
	v_subrev_u32_e32 v4, s1, v0
	v_cndmask_b32_e32 v0, v0, v4, vcc
	v_add_u32_e32 v4, 1, v3
	v_cmp_le_u32_e32 vcc, s1, v0
	v_cndmask_b32_e32 v0, v3, v4, vcc
	v_mul_lo_u32 v3, v9, s2
	v_xor_b32_e32 v0, v0, v2
	v_sub_u32_e32 v6, v0, v2
	v_ashrrev_i32_e32 v0, 31, v8
	v_sub_u32_e32 v2, v5, v3
	v_cmp_le_u32_e32 vcc, s2, v2
	v_subrev_u32_e32 v4, s2, v2
	v_cndmask_b32_e32 v2, v2, v4, vcc
	v_sub_u32_e32 v4, 0, v1
	v_add_u32_e32 v3, 1, v9
	v_max_i32_e32 v5, v1, v4
	v_cndmask_b32_e32 v3, v9, v3, vcc
	s_waitcnt vmcnt(6)
	v_mul_hi_u32 v9, v5, v22
	v_add_u32_e32 v4, 1, v3
	v_cmp_le_u32_e32 vcc, s2, v2
	v_cndmask_b32_e32 v2, v3, v4, vcc
	v_mul_lo_u32 v3, v9, s33
	v_xor_b32_e32 v0, s3, v0
	v_xor_b32_e32 v2, v2, v0
	v_sub_u32_e32 v4, v2, v0
	v_sub_u32_e32 v2, v5, v3
	v_cmp_le_u32_e32 vcc, s33, v2
	v_subrev_u32_e32 v5, s33, v2
	v_add_u32_e32 v3, 1, v9
	v_cndmask_b32_e32 v2, v2, v5, vcc
	v_sub_u32_e32 v5, 0, v11
	v_cndmask_b32_e32 v3, v9, v3, vcc
	v_max_i32_e32 v9, v11, v5
	v_mul_hi_u32 v10, v9, v13
	v_add_u32_e32 v5, 1, v3
	v_cmp_le_u32_e32 vcc, s33, v2
	v_cndmask_b32_e32 v2, v3, v5, vcc
	v_mul_lo_u32 v3, v10, s2
	v_ashrrev_i32_e32 v0, 31, v1
	v_xor_b32_e32 v0, s6, v0
	v_xor_b32_e32 v2, v2, v0
	v_sub_u32_e32 v5, v2, v0
	v_sub_u32_e32 v0, v9, v3
	v_cmp_le_u32_e32 vcc, s2, v0
	v_subrev_u32_e32 v3, s2, v0
	v_cndmask_b32_e32 v0, v0, v3, vcc
	v_sub_u32_e32 v3, 0, v12
	v_add_u32_e32 v2, 1, v10
	v_max_i32_e32 v3, v12, v3
	v_cndmask_b32_e32 v2, v10, v2, vcc
	v_mul_hi_u32 v10, v3, v13
	v_add_u32_e32 v9, 1, v2
	v_ashrrev_i32_e32 v13, 31, v11
	v_cmp_le_u32_e32 vcc, s2, v0
	v_mul_lo_u32 v14, v10, s2
	v_xor_b32_e32 v13, s3, v13
	v_cndmask_b32_e32 v0, v2, v9, vcc
	v_xor_b32_e32 v0, v0, v13
	v_sub_u32_e32 v9, v0, v13
	v_sub_u32_e32 v0, v3, v14
	v_add_u32_e32 v2, 1, v10
	v_cmp_le_u32_e32 vcc, s2, v0
	v_subrev_u32_e32 v14, s0, v7
	v_cndmask_b32_e32 v2, v10, v2, vcc
	v_sub_u32_e32 v10, 0, v14
	v_max_i32_e32 v13, v14, v10
	v_mul_hi_u32 v15, v13, v16
	v_subrev_u32_e32 v3, s2, v0
	v_cndmask_b32_e32 v0, v0, v3, vcc
	v_add_u32_e32 v3, 1, v2
	v_cmp_le_u32_e32 vcc, s2, v0
	v_cndmask_b32_e32 v0, v2, v3, vcc
	v_mul_lo_u32 v3, v15, s1
	v_ashrrev_i32_e32 v2, 31, v12
	v_xor_b32_e32 v2, s3, v2
	v_xor_b32_e32 v0, v0, v2
	v_sub_u32_e32 v10, v0, v2
	v_sub_u32_e32 v0, v13, v3
	;; [unrolled: 1-line block ×3, first 2 shown]
	v_max_i32_e32 v3, v17, v3
	v_mul_hi_u32 v13, v3, v16
	v_add_u32_e32 v2, 1, v15
	v_cmp_le_u32_e32 vcc, s1, v0
	v_cndmask_b32_e32 v2, v15, v2, vcc
	v_subrev_u32_e32 v15, s1, v0
	v_cndmask_b32_e32 v0, v0, v15, vcc
	v_mul_lo_u32 v15, v13, s1
	v_add_u32_e32 v16, 1, v2
	v_cmp_le_u32_e32 vcc, s1, v0
	v_cndmask_b32_e32 v20, v2, v16, vcc
	v_sub_u32_e32 v0, v3, v15
	v_add_u32_e32 v2, 1, v13
	v_cmp_le_u32_e32 vcc, s1, v0
	v_subrev_u32_e32 v3, s1, v0
	v_cndmask_b32_e32 v2, v13, v2, vcc
	v_cndmask_b32_e32 v0, v0, v3, vcc
	v_readlane_b32 s0, v62, 25
	v_add_u32_e32 v3, 1, v2
	v_cmp_le_u32_e32 vcc, s1, v0
	v_subrev_u32_e32 v18, s0, v1
	v_cndmask_b32_e32 v0, v2, v3, vcc
	v_sub_u32_e32 v3, 0, v18
	v_max_i32_e32 v3, v18, v3
	v_mul_hi_u32 v13, v3, v22
	v_ashrrev_i32_e32 v2, 31, v17
	v_xor_b32_e32 v2, s50, v2
	v_xor_b32_e32 v0, v0, v2
	v_sub_u32_e32 v15, v0, v2
	v_mul_lo_u32 v0, v13, s33
	v_or_b32_e32 v21, v5, v4
	v_or_b32_e32 v2, v21, v6
	v_cmp_lt_i32_e32 vcc, -1, v2
	v_sub_u32_e32 v0, v3, v0
	v_add_u32_e32 v2, 1, v13
	v_cmp_le_u32_e64 s[2:3], s33, v0
	v_subrev_u32_e32 v3, s33, v0
	v_cndmask_b32_e64 v2, v13, v2, s[2:3]
	v_cndmask_b32_e64 v0, v0, v3, s[2:3]
	v_readlane_b32 s0, v62, 26
	v_add_u32_e32 v3, 1, v2
	v_cmp_le_u32_e64 s[2:3], s33, v0
	v_subrev_u32_e32 v19, s0, v1
	v_cndmask_b32_e64 v0, v2, v3, s[2:3]
	v_sub_u32_e32 v3, 0, v19
	v_max_i32_e32 v3, v19, v3
	v_mul_hi_u32 v16, v3, v22
	v_ashrrev_i32_e32 v2, 31, v18
	v_xor_b32_e32 v2, s6, v2
	v_xor_b32_e32 v0, v0, v2
	v_sub_u32_e32 v13, v0, v2
	v_mul_lo_u32 v0, v16, s33
	v_or_b32_e32 v22, v13, v4
	v_or_b32_e32 v2, v22, v6
	v_cmp_lt_i32_e64 s[2:3], -1, v2
	v_sub_u32_e32 v0, v3, v0
	v_add_u32_e32 v2, 1, v16
	v_cmp_le_u32_e64 s[4:5], s33, v0
	v_subrev_u32_e32 v3, s33, v0
	v_cndmask_b32_e64 v2, v16, v2, s[4:5]
	v_cndmask_b32_e64 v0, v0, v3, s[4:5]
	v_add_u32_e32 v3, 1, v2
	v_cmp_le_u32_e64 s[4:5], s33, v0
	v_cndmask_b32_e64 v0, v2, v3, s[4:5]
	v_ashrrev_i32_e32 v2, 31, v19
	v_xor_b32_e32 v2, s6, v2
	v_xor_b32_e32 v0, v0, v2
	v_sub_u32_e32 v16, v0, v2
	v_cmp_gt_i32_e64 s[26:27], s70, v4
	v_cmp_gt_i32_e64 s[28:29], s71, v5
	;; [unrolled: 1-line block ×4, first 2 shown]
	s_and_b64 s[48:49], s[28:29], s[26:27]
	s_and_b64 s[46:47], s[30:31], s[26:27]
	s_and_b64 s[44:45], s[34:35], s[26:27]
	v_cmp_gt_i32_e64 s[26:27], s70, v10
	s_and_b64 s[42:43], s[28:29], s[26:27]
	s_and_b64 s[40:41], s[30:31], s[26:27]
	s_and_b64 s[38:39], s[34:35], s[26:27]
	v_cmp_gt_i32_e64 s[26:27], s70, v9
	;; [unrolled: 4-line block ×3, first 2 shown]
	s_and_b64 s[30:31], s[48:49], vcc
	s_and_b64 s[30:31], s[30:31], s[26:27]
	v_or_b32_e32 v25, v16, v4
	v_writelane_b32 v62, s30, 54
	s_and_b64 s[2:3], s[46:47], s[2:3]
	v_or_b32_e32 v0, v25, v6
	v_writelane_b32 v62, s31, 55
	s_and_b64 s[2:3], s[2:3], s[26:27]
	v_cmp_lt_i32_e64 s[4:5], -1, v0
	v_writelane_b32 v62, s2, 56
	v_or_b32_e32 v24, v5, v10
	v_writelane_b32 v62, s3, 57
	s_and_b64 s[2:3], s[44:45], s[4:5]
	v_or_b32_e32 v0, v24, v6
	s_and_b64 s[2:3], s[2:3], s[26:27]
	v_cmp_lt_i32_e64 s[6:7], -1, v0
	v_writelane_b32 v62, s2, 58
	v_or_b32_e32 v28, v13, v10
	v_writelane_b32 v62, s3, 59
	s_and_b64 s[2:3], s[42:43], s[6:7]
	v_or_b32_e32 v0, v28, v6
	;; [unrolled: 7-line block ×4, first 2 shown]
	s_and_b64 s[2:3], s[2:3], s[26:27]
	v_cmp_lt_i32_e64 s[16:17], -1, v0
	v_or_b32_e32 v26, v13, v9
	v_writelane_b32 v63, s2, 0
	v_or_b32_e32 v0, v26, v6
	v_or_b32_e32 v27, v16, v9
	v_writelane_b32 v63, s3, 1
	s_and_b64 s[2:3], s[36:37], s[16:17]
	v_cmp_lt_i32_e64 s[20:21], -1, v0
	v_or_b32_e32 v0, v27, v6
	s_and_b64 s[2:3], s[2:3], s[26:27]
	v_cmp_lt_i32_e64 s[22:23], -1, v0
	v_or_b32_e32 v0, v21, v15
	v_writelane_b32 v63, s2, 2
	v_cmp_lt_i32_e64 s[12:13], -1, v0
	v_or_b32_e32 v0, v22, v15
	v_writelane_b32 v63, s3, 3
	s_and_b64 s[2:3], s[28:29], s[20:21]
	v_cmp_lt_i32_e64 s[14:15], -1, v0
	v_or_b32_e32 v0, v25, v15
	s_and_b64 s[2:3], s[2:3], s[26:27]
	v_cmp_lt_i32_e64 s[18:19], -1, v0
	v_or_b32_e32 v0, v24, v15
	v_writelane_b32 v63, s2, 4
	v_readlane_b32 s68, v62, 17
	v_cmp_lt_i32_e64 s[24:25], -1, v0
	v_writelane_b32 v63, s3, 5
	s_and_b64 s[2:3], s[0:1], s[22:23]
	v_mul_lo_u32 v0, v58, s68
	s_and_b64 s[2:3], s[2:3], s[26:27]
	v_writelane_b32 v63, s2, 6
	v_writelane_b32 v63, s3, 7
	v_or_b32_e32 v2, v28, v15
	v_readlane_b32 s2, v62, 14
	v_cmp_lt_i32_e32 vcc, -1, v2
	v_mul_lo_u32 v2, s2, v0
	v_cmp_gt_i32_e64 s[6:7], s69, v15
	s_and_b64 s[8:9], s[48:49], s[12:13]
	v_or_b32_e32 v3, v29, v15
	s_and_b64 s[8:9], s[8:9], s[6:7]
	v_cmp_lt_i32_e64 s[2:3], -1, v3
	v_or_b32_e32 v3, v23, v15
	v_writelane_b32 v63, s8, 8
	v_cmp_lt_i32_e64 s[4:5], -1, v3
	v_ashrrev_i32_e32 v3, 31, v2
	v_writelane_b32 v63, s9, 9
	s_and_b64 s[8:9], s[46:47], s[14:15]
	v_readlane_b32 s10, v62, 18
	v_lshlrev_b64 v[2:3], 1, v[2:3]
	s_and_b64 s[76:77], s[8:9], s[6:7]
	s_and_b64 s[8:9], s[44:45], s[18:19]
	v_readlane_b32 s11, v62, 19
	s_and_b64 s[78:79], s[8:9], s[6:7]
	s_and_b64 s[8:9], s[42:43], s[24:25]
	v_mov_b32_e32 v30, s11
	s_and_b64 s[90:91], s[8:9], s[6:7]
	s_and_b64 s[8:9], s[40:41], vcc
	v_add_co_u32_e32 v2, vcc, s10, v2
	v_addc_co_u32_e32 v3, vcc, v30, v3, vcc
	v_ashrrev_i32_e32 v30, 31, v14
	v_xor_b32_e32 v30, s50, v30
	v_or_b32_e32 v31, v26, v15
	s_and_b64 s[2:3], s[38:39], s[2:3]
	v_xor_b32_e32 v20, v20, v30
	v_or_b32_e32 v32, v27, v15
	s_and_b64 s[62:63], s[2:3], s[6:7]
	s_and_b64 s[2:3], s[36:37], s[4:5]
	v_cmp_lt_i32_e32 vcc, -1, v31
	v_sub_u32_e32 v20, v20, v30
	s_and_b64 s[64:65], s[2:3], s[6:7]
	s_and_b64 s[2:3], s[28:29], vcc
	v_cmp_lt_i32_e32 vcc, -1, v32
	v_or_b32_e32 v21, v21, v20
	s_and_b64 s[66:67], s[2:3], s[6:7]
	s_and_b64 s[2:3], s[0:1], vcc
	v_cmp_lt_i32_e32 vcc, -1, v21
	v_or_b32_e32 v21, v22, v20
	;; [unrolled: 4-line block ×3, first 2 shown]
	s_and_b64 s[10:11], s[46:47], vcc
	v_cmp_lt_i32_e32 vcc, -1, v21
	v_or_b32_e32 v21, v24, v20
	s_and_b64 s[12:13], s[44:45], vcc
	v_cmp_lt_i32_e32 vcc, -1, v21
	v_or_b32_e32 v21, v28, v20
	;; [unrolled: 3-line block ×3, first 2 shown]
	s_and_b64 s[16:17], s[40:41], vcc
	v_cmp_lt_i32_e32 vcc, -1, v21
	v_mul_lo_u32 v21, v6, s52
	v_mul_lo_u32 v22, v4, s53
	;; [unrolled: 1-line block ×5, first 2 shown]
	s_and_b64 s[18:19], s[38:39], vcc
	v_cmp_eq_u32_e32 vcc, v21, v7
	v_mul_lo_u32 v7, v20, s52
	s_and_b64 s[72:73], s[2:3], s[6:7]
	v_cmp_eq_u32_e64 s[2:3], v22, v8
	v_cmp_eq_u32_e64 s[4:5], v24, v12
	;; [unrolled: 1-line block ×3, first 2 shown]
	s_and_b64 s[20:21], vcc, s[2:3]
	s_and_b64 s[22:23], vcc, s[4:5]
	;; [unrolled: 1-line block ×3, first 2 shown]
	v_cmp_eq_u32_e32 vcc, v28, v17
	s_and_b64 s[26:27], vcc, s[2:3]
	s_and_b64 s[30:31], vcc, s[4:5]
	;; [unrolled: 1-line block ×3, first 2 shown]
	v_cmp_eq_u32_e32 vcc, v7, v14
	v_or_b32_e32 v7, v23, v20
	s_and_b64 s[42:43], vcc, s[2:3]
	s_and_b64 s[48:49], vcc, s[4:5]
	;; [unrolled: 1-line block ×3, first 2 shown]
	v_cmp_lt_i32_e32 vcc, -1, v7
	v_or_b32_e32 v7, v26, v20
	s_and_b64 s[2:3], s[36:37], vcc
	v_cmp_lt_i32_e32 vcc, -1, v7
	v_or_b32_e32 v7, v27, v20
	s_and_b64 s[4:5], s[28:29], vcc
	v_cmp_lt_i32_e32 vcc, -1, v7
	v_mul_lo_u32 v7, v5, s54
	v_mul_lo_u32 v8, v13, s54
	;; [unrolled: 1-line block ×3, first 2 shown]
	s_and_b64 s[6:7], s[0:1], vcc
	v_cmp_eq_u32_e64 s[50:51], v7, v1
	v_mul_lo_u32 v1, v6, s70
	v_cmp_eq_u32_e64 s[52:53], v8, v18
	v_cmp_eq_u32_e64 s[54:55], v11, v19
	v_cmp_gt_i32_e32 vcc, s69, v20
	v_add_u32_e32 v6, v4, v1
	v_mul_lo_u32 v8, v6, s71
	v_add_u32_e32 v12, v10, v1
	v_mul_lo_u32 v14, v12, s71
	v_add_u32_e32 v1, v9, v1
	v_add_u32_e32 v6, v5, v8
	v_ashrrev_i32_e32 v7, 31, v6
	v_lshlrev_b64 v[6:7], 1, v[6:7]
	v_add_u32_e32 v11, v13, v8
	v_ashrrev_i32_e32 v12, 31, v11
	buffer_store_dword v6, off, s[96:99], 0 offset:16 ; 4-byte Folded Spill
	s_nop 0
	buffer_store_dword v7, off, s[96:99], 0 offset:20 ; 4-byte Folded Spill
	v_lshlrev_b64 v[6:7], 1, v[11:12]
	v_add_u32_e32 v17, v16, v8
	v_ashrrev_i32_e32 v18, 31, v17
	buffer_store_dword v6, off, s[96:99], 0 offset:24 ; 4-byte Folded Spill
	s_nop 0
	buffer_store_dword v7, off, s[96:99], 0 offset:28 ; 4-byte Folded Spill
	;; [unrolled: 6-line block ×4, first 2 shown]
	v_mul_lo_u32 v1, v1, s71
	v_lshlrev_b64 v[6:7], 1, v[23:24]
	v_add_u32_e32 v25, v16, v14
	v_ashrrev_i32_e32 v26, 31, v25
	buffer_store_dword v6, off, s[96:99], 0 offset:48 ; 4-byte Folded Spill
	s_nop 0
	buffer_store_dword v7, off, s[96:99], 0 offset:52 ; 4-byte Folded Spill
	v_lshlrev_b64 v[6:7], 1, v[25:26]
	v_mul_lo_u32 v8, v15, s70
	v_add_u32_e32 v14, v5, v1
	v_ashrrev_i32_e32 v15, 31, v14
	buffer_store_dword v6, off, s[96:99], 0 offset:56 ; 4-byte Folded Spill
	s_nop 0
	buffer_store_dword v7, off, s[96:99], 0 offset:60 ; 4-byte Folded Spill
	v_lshlrev_b64 v[6:7], 1, v[14:15]
	v_add_u32_e32 v27, v13, v1
	v_add_u32_e32 v19, v4, v8
	v_ashrrev_i32_e32 v28, 31, v27
	buffer_store_dword v6, off, s[96:99], 0 offset:64 ; 4-byte Folded Spill
	s_nop 0
	buffer_store_dword v7, off, s[96:99], 0 offset:68 ; 4-byte Folded Spill
	v_mul_lo_u32 v19, v19, s71
	v_lshlrev_b64 v[6:7], 1, v[27:28]
	v_add_u32_e32 v29, v16, v1
	v_ashrrev_i32_e32 v30, 31, v29
	buffer_store_dword v6, off, s[96:99], 0 offset:72 ; 4-byte Folded Spill
	s_nop 0
	buffer_store_dword v7, off, s[96:99], 0 offset:76 ; 4-byte Folded Spill
	v_lshlrev_b64 v[6:7], 1, v[29:30]
	v_add_u32_e32 v31, v5, v19
	v_ashrrev_i32_e32 v32, 31, v31
	buffer_store_dword v6, off, s[96:99], 0 offset:80 ; 4-byte Folded Spill
	s_nop 0
	buffer_store_dword v7, off, s[96:99], 0 offset:84 ; 4-byte Folded Spill
	v_lshlrev_b64 v[6:7], 1, v[31:32]
	v_add_u32_e32 v33, v13, v19
	v_add_u32_e32 v1, v10, v8
	v_ashrrev_i32_e32 v34, 31, v33
	buffer_store_dword v6, off, s[96:99], 0 offset:88 ; 4-byte Folded Spill
	s_nop 0
	buffer_store_dword v7, off, s[96:99], 0 offset:92 ; 4-byte Folded Spill
	v_mul_lo_u32 v1, v1, s71
	v_lshlrev_b64 v[6:7], 1, v[33:34]
	v_add_u32_e32 v35, v16, v19
	v_ashrrev_i32_e32 v36, 31, v35
	buffer_store_dword v6, off, s[96:99], 0 offset:96 ; 4-byte Folded Spill
	s_nop 0
	buffer_store_dword v7, off, s[96:99], 0 offset:100 ; 4-byte Folded Spill
	v_lshlrev_b64 v[6:7], 1, v[35:36]
	v_add_u32_e32 v37, v5, v1
	v_ashrrev_i32_e32 v38, 31, v37
	buffer_store_dword v6, off, s[96:99], 0 offset:104 ; 4-byte Folded Spill
	s_nop 0
	buffer_store_dword v7, off, s[96:99], 0 offset:108 ; 4-byte Folded Spill
	v_lshlrev_b64 v[6:7], 1, v[37:38]
	v_add_u32_e32 v39, v13, v1
	v_ashrrev_i32_e32 v40, 31, v39
	v_add_u32_e32 v8, v9, v8
	buffer_store_dword v6, off, s[96:99], 0 offset:112 ; 4-byte Folded Spill
	s_nop 0
	buffer_store_dword v7, off, s[96:99], 0 offset:116 ; 4-byte Folded Spill
	v_mul_lo_u32 v8, v8, s71
	v_lshlrev_b64 v[6:7], 1, v[39:40]
	v_add_u32_e32 v41, v16, v1
	v_ashrrev_i32_e32 v42, 31, v41
	buffer_store_dword v6, off, s[96:99], 0 offset:120 ; 4-byte Folded Spill
	s_nop 0
	buffer_store_dword v7, off, s[96:99], 0 offset:124 ; 4-byte Folded Spill
	v_lshlrev_b64 v[6:7], 1, v[41:42]
	v_mul_lo_u32 v1, v20, s70
	v_add_u32_e32 v19, v5, v8
	v_ashrrev_i32_e32 v20, 31, v19
	buffer_store_dword v6, off, s[96:99], 0 offset:128 ; 4-byte Folded Spill
	s_nop 0
	buffer_store_dword v7, off, s[96:99], 0 offset:132 ; 4-byte Folded Spill
	v_lshlrev_b64 v[6:7], 1, v[19:20]
	v_add_u32_e32 v43, v13, v8
	v_add_u32_e32 v4, v4, v1
	v_ashrrev_i32_e32 v44, 31, v43
	buffer_store_dword v6, off, s[96:99], 0 offset:136 ; 4-byte Folded Spill
	s_nop 0
	buffer_store_dword v7, off, s[96:99], 0 offset:140 ; 4-byte Folded Spill
	v_mul_lo_u32 v4, v4, s71
	v_lshlrev_b64 v[6:7], 1, v[43:44]
	v_add_u32_e32 v45, v16, v8
	v_ashrrev_i32_e32 v46, 31, v45
	buffer_store_dword v6, off, s[96:99], 0 offset:144 ; 4-byte Folded Spill
	s_nop 0
	buffer_store_dword v7, off, s[96:99], 0 offset:148 ; 4-byte Folded Spill
	v_lshlrev_b64 v[6:7], 1, v[45:46]
	v_add_u32_e32 v47, v5, v4
	v_ashrrev_i32_e32 v48, 31, v47
	buffer_store_dword v6, off, s[96:99], 0 offset:152 ; 4-byte Folded Spill
	s_nop 0
	buffer_store_dword v7, off, s[96:99], 0 offset:156 ; 4-byte Folded Spill
	v_lshlrev_b64 v[6:7], 1, v[47:48]
	v_add_u32_e32 v49, v13, v4
	v_ashrrev_i32_e32 v50, 31, v49
	v_add_u32_e32 v8, v10, v1
	buffer_store_dword v6, off, s[96:99], 0 offset:160 ; 4-byte Folded Spill
	s_nop 0
	buffer_store_dword v7, off, s[96:99], 0 offset:164 ; 4-byte Folded Spill
	v_mul_lo_u32 v10, v8, s71
	v_lshlrev_b64 v[6:7], 1, v[49:50]
	v_add_u32_e32 v8, v16, v4
	v_add_u32_e32 v1, v9, v1
	v_ashrrev_i32_e32 v9, 31, v8
	buffer_store_dword v6, off, s[96:99], 0 offset:168 ; 4-byte Folded Spill
	s_nop 0
	buffer_store_dword v7, off, s[96:99], 0 offset:172 ; 4-byte Folded Spill
	v_lshlrev_b64 v[6:7], 1, v[8:9]
	v_add_u32_e32 v51, v5, v10
	v_ashrrev_i32_e32 v52, 31, v51
	buffer_store_dword v6, off, s[96:99], 0 offset:176 ; 4-byte Folded Spill
	s_nop 0
	buffer_store_dword v7, off, s[96:99], 0 offset:180 ; 4-byte Folded Spill
	v_mul_lo_u32 v1, v1, s71
	v_lshlrev_b64 v[6:7], 1, v[51:52]
	v_add_u32_e32 v53, v13, v10
	v_ashrrev_i32_e32 v54, 31, v53
	buffer_store_dword v6, off, s[96:99], 0 offset:184 ; 4-byte Folded Spill
	s_nop 0
	buffer_store_dword v7, off, s[96:99], 0 offset:188 ; 4-byte Folded Spill
	v_lshlrev_b64 v[6:7], 1, v[53:54]
	v_add_u32_e32 v55, v16, v10
	v_add_u32_e32 v4, v5, v1
	v_ashrrev_i32_e32 v56, 31, v55
	v_ashrrev_i32_e32 v5, 31, v4
	buffer_store_dword v6, off, s[96:99], 0 offset:192 ; 4-byte Folded Spill
	s_nop 0
	buffer_store_dword v7, off, s[96:99], 0 offset:196 ; 4-byte Folded Spill
	v_lshlrev_b64 v[6:7], 1, v[55:56]
	v_lshlrev_b64 v[4:5], 1, v[4:5]
	v_add_u32_e32 v57, v13, v1
	s_mov_b64 s[70:71], s[58:59]
	v_mov_b32_e32 v10, v58
	v_ashrrev_i32_e32 v58, 31, v57
	buffer_store_dword v6, off, s[96:99], 0 offset:200 ; 4-byte Folded Spill
	s_nop 0
	buffer_store_dword v7, off, s[96:99], 0 offset:204 ; 4-byte Folded Spill
	buffer_store_dword v4, off, s[96:99], 0 offset:208 ; 4-byte Folded Spill
	s_nop 0
	buffer_store_dword v5, off, s[96:99], 0 offset:212 ; 4-byte Folded Spill
	s_and_b64 s[74:75], s[8:9], vcc
	s_and_b64 s[84:85], s[10:11], vcc
	;; [unrolled: 1-line block ×9, first 2 shown]
	s_and_b64 vcc, s[20:21], s[50:51]
	s_and_b64 s[2:3], s[20:21], s[52:53]
	s_and_b64 s[4:5], s[20:21], s[54:55]
	;; [unrolled: 1-line block ×26, first 2 shown]
	v_lshlrev_b64 v[4:5], 1, v[57:58]
	s_mul_i32 s56, s71, s68
	v_add_u32_e32 v59, v16, v1
	v_mul_lo_u32 v58, s56, v10
	v_ashrrev_i32_e32 v60, 31, v59
	buffer_store_dword v4, off, s[96:99], 0 offset:216 ; 4-byte Folded Spill
	s_nop 0
	buffer_store_dword v5, off, s[96:99], 0 offset:220 ; 4-byte Folded Spill
	v_lshlrev_b64 v[4:5], 1, v[59:60]
	s_mov_b64 s[58:59], 0
	v_add_u32_e32 v1, s68, v0
	v_mov_b32_e32 v60, 0
	buffer_store_dword v4, off, s[96:99], 0 offset:224 ; 4-byte Folded Spill
	s_nop 0
	buffer_store_dword v5, off, s[96:99], 0 offset:228 ; 4-byte Folded Spill
	buffer_store_dword v1, off, s[96:99], 0 offset:12 ; 4-byte Folded Spill
	;; [unrolled: 1-line block ×3, first 2 shown]
	s_branch .LBB25_5
.LBB25_4:                               ;   in Loop: Header=BB25_5 Depth=2
	s_or_b64 exec, exec, s[68:69]
	buffer_load_dword v4, off, s[96:99], 0  ; 4-byte Folded Reload
	v_add_co_u32_e64 v2, s[56:57], 54, v2
	v_addc_co_u32_e64 v3, s[56:57], 0, v3, s[56:57]
	v_add_u32_e32 v0, 1, v0
	v_add_u32_e32 v58, s71, v58
	s_waitcnt vmcnt(0)
	v_fma_mix_f32 v4, v59, v4, v60 op_sel_hi:[0,1,0]
	v_cndmask_b32_e32 v4, v60, v4, vcc
	v_fma_mix_f32 v5, v8, v6, v4 op_sel_hi:[0,1,0]
	v_cndmask_b32_e64 v4, v4, v5, s[2:3]
	v_fma_mix_f32 v5, v7, v1, v4 op_sel_hi:[0,1,0]
	buffer_load_dword v1, off, s[96:99], 0 offset:12 ; 4-byte Folded Reload
	v_cndmask_b32_e64 v4, v4, v5, s[4:5]
	v_fma_mix_f32 v5, v12, v61, v4 op_sel_hi:[0,1,0]
	v_cndmask_b32_e64 v4, v4, v5, s[6:7]
	v_fma_mix_f32 v5, v11, v13, v4 op_sel_hi:[0,1,0]
	;; [unrolled: 2-line block ×24, first 2 shown]
	v_cndmask_b32_e64 v60, v4, v5, s[54:55]
	s_waitcnt vmcnt(0)
	v_cmp_ge_i32_e64 s[56:57], v0, v1
	s_or_b64 s[58:59], s[56:57], s[58:59]
	s_andn2_b64 exec, exec, s[58:59]
	s_cbranch_execz .LBB25_59
.LBB25_5:                               ;   Parent Loop BB25_2 Depth=1
                                        ; =>  This Inner Loop Header: Depth=2
	buffer_load_dword v6, off, s[96:99], 0 offset:4 ; 4-byte Folded Reload
	v_ashrrev_i32_e32 v59, 31, v58
	v_lshlrev_b64 v[4:5], 1, v[58:59]
	global_load_ushort v1, v[2:3], off
	v_mov_b32_e32 v59, 0
	s_waitcnt vmcnt(1)
	v_add_co_u32_e64 v4, s[56:57], v6, v4
	buffer_load_dword v6, off, s[96:99], 0 offset:8 ; 4-byte Folded Reload
	s_waitcnt vmcnt(0)
	v_addc_co_u32_e64 v5, s[56:57], v6, v5, s[56:57]
	buffer_store_dword v1, off, s[96:99], 0 ; 4-byte Folded Spill
	s_mov_b64 s[68:69], exec
	v_readlane_b32 s56, v62, 54
	v_readlane_b32 s57, v62, 55
	s_and_b64 s[56:57], s[68:69], s[56:57]
	s_mov_b64 exec, s[56:57]
	s_cbranch_execz .LBB25_7
; %bb.6:                                ;   in Loop: Header=BB25_5 Depth=2
	buffer_load_dword v6, off, s[96:99], 0 offset:16 ; 4-byte Folded Reload
	buffer_load_dword v7, off, s[96:99], 0 offset:20 ; 4-byte Folded Reload
	s_waitcnt vmcnt(1)
	v_add_co_u32_e64 v6, s[56:57], v4, v6
	s_waitcnt vmcnt(0)
	v_addc_co_u32_e64 v7, s[56:57], v5, v7, s[56:57]
	global_load_ushort v6, v[6:7], off
	s_waitcnt vmcnt(0)
	v_cvt_f32_f16_e32 v59, v6
.LBB25_7:                               ;   in Loop: Header=BB25_5 Depth=2
	s_or_b64 exec, exec, s[68:69]
	global_load_ushort v6, v[2:3], off offset:2
	v_mov_b32_e32 v7, 0
	v_mov_b32_e32 v8, 0
	s_mov_b64 s[68:69], exec
	v_readlane_b32 s56, v62, 56
	v_readlane_b32 s57, v62, 57
	s_and_b64 s[56:57], s[68:69], s[56:57]
	s_mov_b64 exec, s[56:57]
	s_cbranch_execz .LBB25_9
; %bb.8:                                ;   in Loop: Header=BB25_5 Depth=2
	buffer_load_dword v8, off, s[96:99], 0 offset:24 ; 4-byte Folded Reload
	buffer_load_dword v9, off, s[96:99], 0 offset:28 ; 4-byte Folded Reload
	s_waitcnt vmcnt(1)
	v_add_co_u32_e64 v8, s[56:57], v4, v8
	s_waitcnt vmcnt(0)
	v_addc_co_u32_e64 v9, s[56:57], v5, v9, s[56:57]
	global_load_ushort v8, v[8:9], off
	s_waitcnt vmcnt(0)
	v_cvt_f32_f16_e32 v8, v8
.LBB25_9:                               ;   in Loop: Header=BB25_5 Depth=2
	s_or_b64 exec, exec, s[68:69]
	global_load_ushort v1, v[2:3], off offset:4
	s_mov_b64 s[68:69], exec
	v_readlane_b32 s56, v62, 58
	v_readlane_b32 s57, v62, 59
	s_and_b64 s[56:57], s[68:69], s[56:57]
	s_mov_b64 exec, s[56:57]
	s_cbranch_execz .LBB25_11
; %bb.10:                               ;   in Loop: Header=BB25_5 Depth=2
	buffer_load_dword v10, off, s[96:99], 0 offset:32 ; 4-byte Folded Reload
	buffer_load_dword v11, off, s[96:99], 0 offset:36 ; 4-byte Folded Reload
	s_waitcnt vmcnt(1)
	v_add_co_u32_e64 v10, s[56:57], v4, v10
	s_waitcnt vmcnt(0)
	v_addc_co_u32_e64 v11, s[56:57], v5, v11, s[56:57]
	global_load_ushort v7, v[10:11], off
	s_waitcnt vmcnt(0)
	v_cvt_f32_f16_e32 v7, v7
.LBB25_11:                              ;   in Loop: Header=BB25_5 Depth=2
	s_or_b64 exec, exec, s[68:69]
	global_load_ushort v61, v[2:3], off offset:6
	v_mov_b32_e32 v11, 0
	v_mov_b32_e32 v12, 0
	s_mov_b64 s[68:69], exec
	v_readlane_b32 s56, v62, 60
	v_readlane_b32 s57, v62, 61
	s_and_b64 s[56:57], s[68:69], s[56:57]
	s_mov_b64 exec, s[56:57]
	s_cbranch_execz .LBB25_13
; %bb.12:                               ;   in Loop: Header=BB25_5 Depth=2
	buffer_load_dword v12, off, s[96:99], 0 offset:40 ; 4-byte Folded Reload
	buffer_load_dword v13, off, s[96:99], 0 offset:44 ; 4-byte Folded Reload
	s_waitcnt vmcnt(1)
	v_add_co_u32_e64 v12, s[56:57], v4, v12
	s_waitcnt vmcnt(0)
	v_addc_co_u32_e64 v13, s[56:57], v5, v13, s[56:57]
	global_load_ushort v12, v[12:13], off
	s_waitcnt vmcnt(0)
	v_cvt_f32_f16_e32 v12, v12
.LBB25_13:                              ;   in Loop: Header=BB25_5 Depth=2
	s_or_b64 exec, exec, s[68:69]
	global_load_ushort v13, v[2:3], off offset:8
	s_mov_b64 s[68:69], exec
	v_readlane_b32 s56, v62, 62
	v_readlane_b32 s57, v62, 63
	s_and_b64 s[56:57], s[68:69], s[56:57]
	s_mov_b64 exec, s[56:57]
	s_cbranch_execz .LBB25_15
; %bb.14:                               ;   in Loop: Header=BB25_5 Depth=2
	buffer_load_dword v14, off, s[96:99], 0 offset:48 ; 4-byte Folded Reload
	buffer_load_dword v15, off, s[96:99], 0 offset:52 ; 4-byte Folded Reload
	s_waitcnt vmcnt(1)
	v_add_co_u32_e64 v14, s[56:57], v4, v14
	s_waitcnt vmcnt(0)
	v_addc_co_u32_e64 v15, s[56:57], v5, v15, s[56:57]
	global_load_ushort v11, v[14:15], off
	s_waitcnt vmcnt(0)
	v_cvt_f32_f16_e32 v11, v11
.LBB25_15:                              ;   in Loop: Header=BB25_5 Depth=2
	s_or_b64 exec, exec, s[68:69]
	global_load_ushort v14, v[2:3], off offset:10
	v_mov_b32_e32 v15, 0
	v_mov_b32_e32 v16, 0
	s_mov_b64 s[68:69], exec
	v_readlane_b32 s56, v63, 0
	v_readlane_b32 s57, v63, 1
	s_and_b64 s[56:57], s[68:69], s[56:57]
	s_mov_b64 exec, s[56:57]
	s_cbranch_execz .LBB25_17
; %bb.16:                               ;   in Loop: Header=BB25_5 Depth=2
	buffer_load_dword v16, off, s[96:99], 0 offset:56 ; 4-byte Folded Reload
	buffer_load_dword v17, off, s[96:99], 0 offset:60 ; 4-byte Folded Reload
	s_waitcnt vmcnt(1)
	v_add_co_u32_e64 v16, s[56:57], v4, v16
	s_waitcnt vmcnt(0)
	v_addc_co_u32_e64 v17, s[56:57], v5, v17, s[56:57]
	global_load_ushort v16, v[16:17], off
	s_waitcnt vmcnt(0)
	v_cvt_f32_f16_e32 v16, v16
.LBB25_17:                              ;   in Loop: Header=BB25_5 Depth=2
	;; [unrolled: 40-line block ×4, first 2 shown]
	s_or_b64 exec, exec, s[68:69]
	global_load_ushort v25, v[2:3], off offset:20
	s_and_saveexec_b64 s[68:69], s[76:77]
	s_cbranch_execz .LBB25_27
; %bb.26:                               ;   in Loop: Header=BB25_5 Depth=2
	buffer_load_dword v26, off, s[96:99], 0 offset:96 ; 4-byte Folded Reload
	buffer_load_dword v27, off, s[96:99], 0 offset:100 ; 4-byte Folded Reload
	s_waitcnt vmcnt(1)
	v_add_co_u32_e64 v26, s[56:57], v4, v26
	s_waitcnt vmcnt(0)
	v_addc_co_u32_e64 v27, s[56:57], v5, v27, s[56:57]
	global_load_ushort v23, v[26:27], off
	s_waitcnt vmcnt(0)
	v_cvt_f32_f16_e32 v23, v23
.LBB25_27:                              ;   in Loop: Header=BB25_5 Depth=2
	s_or_b64 exec, exec, s[68:69]
	global_load_ushort v26, v[2:3], off offset:22
	v_mov_b32_e32 v27, 0
	v_mov_b32_e32 v28, 0
	s_and_saveexec_b64 s[68:69], s[78:79]
	s_cbranch_execz .LBB25_29
; %bb.28:                               ;   in Loop: Header=BB25_5 Depth=2
	buffer_load_dword v28, off, s[96:99], 0 offset:104 ; 4-byte Folded Reload
	buffer_load_dword v29, off, s[96:99], 0 offset:108 ; 4-byte Folded Reload
	s_waitcnt vmcnt(1)
	v_add_co_u32_e64 v28, s[56:57], v4, v28
	s_waitcnt vmcnt(0)
	v_addc_co_u32_e64 v29, s[56:57], v5, v29, s[56:57]
	global_load_ushort v28, v[28:29], off
	s_waitcnt vmcnt(0)
	v_cvt_f32_f16_e32 v28, v28
.LBB25_29:                              ;   in Loop: Header=BB25_5 Depth=2
	s_or_b64 exec, exec, s[68:69]
	global_load_ushort v29, v[2:3], off offset:24
	s_and_saveexec_b64 s[68:69], s[90:91]
	s_cbranch_execz .LBB25_31
; %bb.30:                               ;   in Loop: Header=BB25_5 Depth=2
	buffer_load_dword v30, off, s[96:99], 0 offset:112 ; 4-byte Folded Reload
	buffer_load_dword v31, off, s[96:99], 0 offset:116 ; 4-byte Folded Reload
	s_waitcnt vmcnt(1)
	v_add_co_u32_e64 v30, s[56:57], v4, v30
	s_waitcnt vmcnt(0)
	v_addc_co_u32_e64 v31, s[56:57], v5, v31, s[56:57]
	global_load_ushort v27, v[30:31], off
	s_waitcnt vmcnt(0)
	v_cvt_f32_f16_e32 v27, v27
.LBB25_31:                              ;   in Loop: Header=BB25_5 Depth=2
	s_or_b64 exec, exec, s[68:69]
	global_load_ushort v30, v[2:3], off offset:26
	v_mov_b32_e32 v31, 0
	v_mov_b32_e32 v32, 0
	s_and_saveexec_b64 s[68:69], s[60:61]
	s_cbranch_execz .LBB25_33
; %bb.32:                               ;   in Loop: Header=BB25_5 Depth=2
	buffer_load_dword v32, off, s[96:99], 0 offset:120 ; 4-byte Folded Reload
	buffer_load_dword v33, off, s[96:99], 0 offset:124 ; 4-byte Folded Reload
	s_waitcnt vmcnt(1)
	v_add_co_u32_e64 v32, s[56:57], v4, v32
	s_waitcnt vmcnt(0)
	v_addc_co_u32_e64 v33, s[56:57], v5, v33, s[56:57]
	global_load_ushort v32, v[32:33], off
	s_waitcnt vmcnt(0)
	v_cvt_f32_f16_e32 v32, v32
.LBB25_33:                              ;   in Loop: Header=BB25_5 Depth=2
	;; [unrolled: 32-line block ×8, first 2 shown]
	s_or_b64 exec, exec, s[68:69]
	global_load_ushort v57, v[2:3], off offset:52
	s_and_saveexec_b64 s[68:69], s[86:87]
	s_cbranch_execz .LBB25_4
; %bb.58:                               ;   in Loop: Header=BB25_5 Depth=2
	buffer_load_dword v9, off, s[96:99], 0 offset:224 ; 4-byte Folded Reload
	buffer_load_dword v10, off, s[96:99], 0 offset:228 ; 4-byte Folded Reload
	s_waitcnt vmcnt(1)
	v_add_co_u32_e64 v4, s[56:57], v4, v9
	s_waitcnt vmcnt(0)
	v_addc_co_u32_e64 v5, s[56:57], v5, v10, s[56:57]
	global_load_ushort v4, v[4:5], off
	s_waitcnt vmcnt(0)
	v_cvt_f32_f16_e32 v55, v4
	s_branch .LBB25_4
.LBB25_59:                              ;   in Loop: Header=BB25_2 Depth=1
	s_or_b64 exec, exec, s[58:59]
	buffer_load_dword v9, off, s[96:99], 0 offset:240 ; 4-byte Folded Reload
	buffer_load_dword v8, off, s[96:99], 0 offset:244 ; 4-byte Folded Reload
	;; [unrolled: 1-line block ×5, first 2 shown]
	v_cvt_f16_f32_e32 v0, v60
	v_readlane_b32 s16, v62, 50
	v_readlane_b32 s17, v62, 51
	s_branch .LBB25_61
.LBB25_60:                              ;   in Loop: Header=BB25_2 Depth=1
	v_mov_b32_e32 v0, 0
.LBB25_61:                              ;   in Loop: Header=BB25_2 Depth=1
	v_readlane_b32 s8, v62, 52
	v_readlane_b32 s9, v62, 53
; %bb.62:                               ;   in Loop: Header=BB25_2 Depth=1
	s_waitcnt vmcnt(0)
	v_mul_lo_u32 v1, v5, s17
	v_readlane_b32 s4, v62, 20
	v_mul_lo_u32 v3, s4, v58
	v_readlane_b32 s0, v62, 15
	v_ashrrev_i32_e32 v2, 31, v1
	v_lshlrev_b64 v[1:2], 1, v[1:2]
	v_readlane_b32 s1, v62, 16
	v_mov_b32_e32 v4, s1
	v_add_co_u32_e32 v5, vcc, s0, v1
	v_readlane_b32 s5, v62, 21
	v_addc_co_u32_e32 v6, vcc, v4, v2, vcc
	v_ashrrev_i32_e32 v4, 31, v3
	v_lshlrev_b64 v[1:2], 1, v[3:4]
	v_mul_lo_u32 v3, s5, v7
	v_readlane_b32 s6, v62, 22
	v_add_co_u32_e32 v5, vcc, v5, v1
	v_ashrrev_i32_e32 v4, 31, v3
	v_addc_co_u32_e32 v6, vcc, v6, v2, vcc
	v_lshlrev_b64 v[1:2], 1, v[3:4]
	v_mul_lo_u32 v3, s6, v8
	v_readlane_b32 s7, v62, 23
	v_add_co_u32_e32 v5, vcc, v5, v1
	v_ashrrev_i32_e32 v4, 31, v3
	v_addc_co_u32_e32 v6, vcc, v6, v2, vcc
	v_lshlrev_b64 v[1:2], 1, v[3:4]
	v_mul_lo_u32 v3, s7, v9
	v_add_co_u32_e32 v5, vcc, v5, v1
	v_addc_co_u32_e32 v6, vcc, v6, v2, vcc
	v_ashrrev_i32_e32 v4, 31, v3
	v_lshlrev_b64 v[1:2], 1, v[3:4]
	buffer_load_dword v3, off, s[96:99], 0 offset:232 ; 4-byte Folded Reload
	buffer_load_dword v4, off, s[96:99], 0 offset:236 ; 4-byte Folded Reload
	v_readlane_b32 s0, v62, 24
	v_add_co_u32_e64 v1, s[2:3], v5, v1
	v_addc_co_u32_e64 v2, s[2:3], v6, v2, s[2:3]
	global_store_short v[1:2], v0, off
	s_waitcnt vmcnt(2)
	v_add_co_u32_e32 v3, vcc, s0, v3
	v_readlane_b32 s0, v62, 5
	s_waitcnt vmcnt(1)
	v_addc_co_u32_e32 v4, vcc, 0, v4, vcc
	v_readlane_b32 s1, v62, 6
	v_cmp_le_i64_e32 vcc, s[0:1], v[3:4]
	s_or_b64 s[8:9], vcc, s[8:9]
	s_andn2_b64 exec, exec, s[8:9]
	s_cbranch_execnz .LBB25_2
.LBB25_63:
	s_endpgm
	.section	.rodata,"a",@progbits
	.p2align	6, 0x0
	.amdhsa_kernel _ZN2at6native12_GLOBAL__N_143conv_depthwise3d_cuda_backward_input_kernelIN3c104HalfEfLi3ELi3ELi3ELin1ELin1ELin1ELin1ELin1ELin1EEEvN5torch10headeronly6detail27GenericPackedTensorAccessorINS7_14TensorAccessorINS3_8ArrayRefIlEEKT_Lm4ENS6_16DefaultPtrTraitsEiEENS_6detail16IndexBoundsCheckILm5EiEESD_Lm5ESE_iEENS8_INS9_ISB_SC_Lm4ESE_iEESI_SC_Lm5ESE_iEESJ_iiiiiiiii
		.amdhsa_group_segment_fixed_size 0
		.amdhsa_private_segment_fixed_size 292
		.amdhsa_kernarg_size 440
		.amdhsa_user_sgpr_count 6
		.amdhsa_user_sgpr_private_segment_buffer 1
		.amdhsa_user_sgpr_dispatch_ptr 0
		.amdhsa_user_sgpr_queue_ptr 0
		.amdhsa_user_sgpr_kernarg_segment_ptr 1
		.amdhsa_user_sgpr_dispatch_id 0
		.amdhsa_user_sgpr_flat_scratch_init 0
		.amdhsa_user_sgpr_private_segment_size 0
		.amdhsa_uses_dynamic_stack 0
		.amdhsa_system_sgpr_private_segment_wavefront_offset 1
		.amdhsa_system_sgpr_workgroup_id_x 1
		.amdhsa_system_sgpr_workgroup_id_y 0
		.amdhsa_system_sgpr_workgroup_id_z 0
		.amdhsa_system_sgpr_workgroup_info 0
		.amdhsa_system_vgpr_workitem_id 0
		.amdhsa_next_free_vgpr 64
		.amdhsa_next_free_sgpr 100
		.amdhsa_reserve_vcc 1
		.amdhsa_reserve_flat_scratch 0
		.amdhsa_float_round_mode_32 0
		.amdhsa_float_round_mode_16_64 0
		.amdhsa_float_denorm_mode_32 3
		.amdhsa_float_denorm_mode_16_64 3
		.amdhsa_dx10_clamp 1
		.amdhsa_ieee_mode 1
		.amdhsa_fp16_overflow 0
		.amdhsa_exception_fp_ieee_invalid_op 0
		.amdhsa_exception_fp_denorm_src 0
		.amdhsa_exception_fp_ieee_div_zero 0
		.amdhsa_exception_fp_ieee_overflow 0
		.amdhsa_exception_fp_ieee_underflow 0
		.amdhsa_exception_fp_ieee_inexact 0
		.amdhsa_exception_int_div_zero 0
	.end_amdhsa_kernel
	.section	.text._ZN2at6native12_GLOBAL__N_143conv_depthwise3d_cuda_backward_input_kernelIN3c104HalfEfLi3ELi3ELi3ELin1ELin1ELin1ELin1ELin1ELin1EEEvN5torch10headeronly6detail27GenericPackedTensorAccessorINS7_14TensorAccessorINS3_8ArrayRefIlEEKT_Lm4ENS6_16DefaultPtrTraitsEiEENS_6detail16IndexBoundsCheckILm5EiEESD_Lm5ESE_iEENS8_INS9_ISB_SC_Lm4ESE_iEESI_SC_Lm5ESE_iEESJ_iiiiiiiii,"axG",@progbits,_ZN2at6native12_GLOBAL__N_143conv_depthwise3d_cuda_backward_input_kernelIN3c104HalfEfLi3ELi3ELi3ELin1ELin1ELin1ELin1ELin1ELin1EEEvN5torch10headeronly6detail27GenericPackedTensorAccessorINS7_14TensorAccessorINS3_8ArrayRefIlEEKT_Lm4ENS6_16DefaultPtrTraitsEiEENS_6detail16IndexBoundsCheckILm5EiEESD_Lm5ESE_iEENS8_INS9_ISB_SC_Lm4ESE_iEESI_SC_Lm5ESE_iEESJ_iiiiiiiii,comdat
.Lfunc_end25:
	.size	_ZN2at6native12_GLOBAL__N_143conv_depthwise3d_cuda_backward_input_kernelIN3c104HalfEfLi3ELi3ELi3ELin1ELin1ELin1ELin1ELin1ELin1EEEvN5torch10headeronly6detail27GenericPackedTensorAccessorINS7_14TensorAccessorINS3_8ArrayRefIlEEKT_Lm4ENS6_16DefaultPtrTraitsEiEENS_6detail16IndexBoundsCheckILm5EiEESD_Lm5ESE_iEENS8_INS9_ISB_SC_Lm4ESE_iEESI_SC_Lm5ESE_iEESJ_iiiiiiiii, .Lfunc_end25-_ZN2at6native12_GLOBAL__N_143conv_depthwise3d_cuda_backward_input_kernelIN3c104HalfEfLi3ELi3ELi3ELin1ELin1ELin1ELin1ELin1ELin1EEEvN5torch10headeronly6detail27GenericPackedTensorAccessorINS7_14TensorAccessorINS3_8ArrayRefIlEEKT_Lm4ENS6_16DefaultPtrTraitsEiEENS_6detail16IndexBoundsCheckILm5EiEESD_Lm5ESE_iEENS8_INS9_ISB_SC_Lm4ESE_iEESI_SC_Lm5ESE_iEESJ_iiiiiiiii
                                        ; -- End function
	.set _ZN2at6native12_GLOBAL__N_143conv_depthwise3d_cuda_backward_input_kernelIN3c104HalfEfLi3ELi3ELi3ELin1ELin1ELin1ELin1ELin1ELin1EEEvN5torch10headeronly6detail27GenericPackedTensorAccessorINS7_14TensorAccessorINS3_8ArrayRefIlEEKT_Lm4ENS6_16DefaultPtrTraitsEiEENS_6detail16IndexBoundsCheckILm5EiEESD_Lm5ESE_iEENS8_INS9_ISB_SC_Lm4ESE_iEESI_SC_Lm5ESE_iEESJ_iiiiiiiii.num_vgpr, 64
	.set _ZN2at6native12_GLOBAL__N_143conv_depthwise3d_cuda_backward_input_kernelIN3c104HalfEfLi3ELi3ELi3ELin1ELin1ELin1ELin1ELin1ELin1EEEvN5torch10headeronly6detail27GenericPackedTensorAccessorINS7_14TensorAccessorINS3_8ArrayRefIlEEKT_Lm4ENS6_16DefaultPtrTraitsEiEENS_6detail16IndexBoundsCheckILm5EiEESD_Lm5ESE_iEENS8_INS9_ISB_SC_Lm4ESE_iEESI_SC_Lm5ESE_iEESJ_iiiiiiiii.num_agpr, 0
	.set _ZN2at6native12_GLOBAL__N_143conv_depthwise3d_cuda_backward_input_kernelIN3c104HalfEfLi3ELi3ELi3ELin1ELin1ELin1ELin1ELin1ELin1EEEvN5torch10headeronly6detail27GenericPackedTensorAccessorINS7_14TensorAccessorINS3_8ArrayRefIlEEKT_Lm4ENS6_16DefaultPtrTraitsEiEENS_6detail16IndexBoundsCheckILm5EiEESD_Lm5ESE_iEENS8_INS9_ISB_SC_Lm4ESE_iEESI_SC_Lm5ESE_iEESJ_iiiiiiiii.numbered_sgpr, 100
	.set _ZN2at6native12_GLOBAL__N_143conv_depthwise3d_cuda_backward_input_kernelIN3c104HalfEfLi3ELi3ELi3ELin1ELin1ELin1ELin1ELin1ELin1EEEvN5torch10headeronly6detail27GenericPackedTensorAccessorINS7_14TensorAccessorINS3_8ArrayRefIlEEKT_Lm4ENS6_16DefaultPtrTraitsEiEENS_6detail16IndexBoundsCheckILm5EiEESD_Lm5ESE_iEENS8_INS9_ISB_SC_Lm4ESE_iEESI_SC_Lm5ESE_iEESJ_iiiiiiiii.num_named_barrier, 0
	.set _ZN2at6native12_GLOBAL__N_143conv_depthwise3d_cuda_backward_input_kernelIN3c104HalfEfLi3ELi3ELi3ELin1ELin1ELin1ELin1ELin1ELin1EEEvN5torch10headeronly6detail27GenericPackedTensorAccessorINS7_14TensorAccessorINS3_8ArrayRefIlEEKT_Lm4ENS6_16DefaultPtrTraitsEiEENS_6detail16IndexBoundsCheckILm5EiEESD_Lm5ESE_iEENS8_INS9_ISB_SC_Lm4ESE_iEESI_SC_Lm5ESE_iEESJ_iiiiiiiii.private_seg_size, 292
	.set _ZN2at6native12_GLOBAL__N_143conv_depthwise3d_cuda_backward_input_kernelIN3c104HalfEfLi3ELi3ELi3ELin1ELin1ELin1ELin1ELin1ELin1EEEvN5torch10headeronly6detail27GenericPackedTensorAccessorINS7_14TensorAccessorINS3_8ArrayRefIlEEKT_Lm4ENS6_16DefaultPtrTraitsEiEENS_6detail16IndexBoundsCheckILm5EiEESD_Lm5ESE_iEENS8_INS9_ISB_SC_Lm4ESE_iEESI_SC_Lm5ESE_iEESJ_iiiiiiiii.uses_vcc, 1
	.set _ZN2at6native12_GLOBAL__N_143conv_depthwise3d_cuda_backward_input_kernelIN3c104HalfEfLi3ELi3ELi3ELin1ELin1ELin1ELin1ELin1ELin1EEEvN5torch10headeronly6detail27GenericPackedTensorAccessorINS7_14TensorAccessorINS3_8ArrayRefIlEEKT_Lm4ENS6_16DefaultPtrTraitsEiEENS_6detail16IndexBoundsCheckILm5EiEESD_Lm5ESE_iEENS8_INS9_ISB_SC_Lm4ESE_iEESI_SC_Lm5ESE_iEESJ_iiiiiiiii.uses_flat_scratch, 0
	.set _ZN2at6native12_GLOBAL__N_143conv_depthwise3d_cuda_backward_input_kernelIN3c104HalfEfLi3ELi3ELi3ELin1ELin1ELin1ELin1ELin1ELin1EEEvN5torch10headeronly6detail27GenericPackedTensorAccessorINS7_14TensorAccessorINS3_8ArrayRefIlEEKT_Lm4ENS6_16DefaultPtrTraitsEiEENS_6detail16IndexBoundsCheckILm5EiEESD_Lm5ESE_iEENS8_INS9_ISB_SC_Lm4ESE_iEESI_SC_Lm5ESE_iEESJ_iiiiiiiii.has_dyn_sized_stack, 0
	.set _ZN2at6native12_GLOBAL__N_143conv_depthwise3d_cuda_backward_input_kernelIN3c104HalfEfLi3ELi3ELi3ELin1ELin1ELin1ELin1ELin1ELin1EEEvN5torch10headeronly6detail27GenericPackedTensorAccessorINS7_14TensorAccessorINS3_8ArrayRefIlEEKT_Lm4ENS6_16DefaultPtrTraitsEiEENS_6detail16IndexBoundsCheckILm5EiEESD_Lm5ESE_iEENS8_INS9_ISB_SC_Lm4ESE_iEESI_SC_Lm5ESE_iEESJ_iiiiiiiii.has_recursion, 0
	.set _ZN2at6native12_GLOBAL__N_143conv_depthwise3d_cuda_backward_input_kernelIN3c104HalfEfLi3ELi3ELi3ELin1ELin1ELin1ELin1ELin1ELin1EEEvN5torch10headeronly6detail27GenericPackedTensorAccessorINS7_14TensorAccessorINS3_8ArrayRefIlEEKT_Lm4ENS6_16DefaultPtrTraitsEiEENS_6detail16IndexBoundsCheckILm5EiEESD_Lm5ESE_iEENS8_INS9_ISB_SC_Lm4ESE_iEESI_SC_Lm5ESE_iEESJ_iiiiiiiii.has_indirect_call, 0
	.section	.AMDGPU.csdata,"",@progbits
; Kernel info:
; codeLenInByte = 8456
; TotalNumSgprs: 104
; NumVgprs: 64
; ScratchSize: 292
; MemoryBound: 0
; FloatMode: 240
; IeeeMode: 1
; LDSByteSize: 0 bytes/workgroup (compile time only)
; SGPRBlocks: 12
; VGPRBlocks: 15
; NumSGPRsForWavesPerEU: 104
; NumVGPRsForWavesPerEU: 64
; Occupancy: 4
; WaveLimiterHint : 0
; COMPUTE_PGM_RSRC2:SCRATCH_EN: 1
; COMPUTE_PGM_RSRC2:USER_SGPR: 6
; COMPUTE_PGM_RSRC2:TRAP_HANDLER: 0
; COMPUTE_PGM_RSRC2:TGID_X_EN: 1
; COMPUTE_PGM_RSRC2:TGID_Y_EN: 0
; COMPUTE_PGM_RSRC2:TGID_Z_EN: 0
; COMPUTE_PGM_RSRC2:TIDIG_COMP_CNT: 0
	.section	.text._ZN2at6native12_GLOBAL__N_143conv_depthwise3d_cuda_backward_input_kernelIN3c104HalfEfLin1ELin1ELin1ELin1ELin1ELin1ELin1ELin1ELin1EEEvN5torch10headeronly6detail27GenericPackedTensorAccessorINS7_14TensorAccessorINS3_8ArrayRefIlEEKT_Lm4ENS6_16DefaultPtrTraitsEiEENS_6detail16IndexBoundsCheckILm5EiEESD_Lm5ESE_iEENS8_INS9_ISB_SC_Lm4ESE_iEESI_SC_Lm5ESE_iEESJ_iiiiiiiii,"axG",@progbits,_ZN2at6native12_GLOBAL__N_143conv_depthwise3d_cuda_backward_input_kernelIN3c104HalfEfLin1ELin1ELin1ELin1ELin1ELin1ELin1ELin1ELin1EEEvN5torch10headeronly6detail27GenericPackedTensorAccessorINS7_14TensorAccessorINS3_8ArrayRefIlEEKT_Lm4ENS6_16DefaultPtrTraitsEiEENS_6detail16IndexBoundsCheckILm5EiEESD_Lm5ESE_iEENS8_INS9_ISB_SC_Lm4ESE_iEESI_SC_Lm5ESE_iEESJ_iiiiiiiii,comdat
	.globl	_ZN2at6native12_GLOBAL__N_143conv_depthwise3d_cuda_backward_input_kernelIN3c104HalfEfLin1ELin1ELin1ELin1ELin1ELin1ELin1ELin1ELin1EEEvN5torch10headeronly6detail27GenericPackedTensorAccessorINS7_14TensorAccessorINS3_8ArrayRefIlEEKT_Lm4ENS6_16DefaultPtrTraitsEiEENS_6detail16IndexBoundsCheckILm5EiEESD_Lm5ESE_iEENS8_INS9_ISB_SC_Lm4ESE_iEESI_SC_Lm5ESE_iEESJ_iiiiiiiii ; -- Begin function _ZN2at6native12_GLOBAL__N_143conv_depthwise3d_cuda_backward_input_kernelIN3c104HalfEfLin1ELin1ELin1ELin1ELin1ELin1ELin1ELin1ELin1EEEvN5torch10headeronly6detail27GenericPackedTensorAccessorINS7_14TensorAccessorINS3_8ArrayRefIlEEKT_Lm4ENS6_16DefaultPtrTraitsEiEENS_6detail16IndexBoundsCheckILm5EiEESD_Lm5ESE_iEENS8_INS9_ISB_SC_Lm4ESE_iEESI_SC_Lm5ESE_iEESJ_iiiiiiiii
	.p2align	8
	.type	_ZN2at6native12_GLOBAL__N_143conv_depthwise3d_cuda_backward_input_kernelIN3c104HalfEfLin1ELin1ELin1ELin1ELin1ELin1ELin1ELin1ELin1EEEvN5torch10headeronly6detail27GenericPackedTensorAccessorINS7_14TensorAccessorINS3_8ArrayRefIlEEKT_Lm4ENS6_16DefaultPtrTraitsEiEENS_6detail16IndexBoundsCheckILm5EiEESD_Lm5ESE_iEENS8_INS9_ISB_SC_Lm4ESE_iEESI_SC_Lm5ESE_iEESJ_iiiiiiiii,@function
_ZN2at6native12_GLOBAL__N_143conv_depthwise3d_cuda_backward_input_kernelIN3c104HalfEfLin1ELin1ELin1ELin1ELin1ELin1ELin1ELin1ELin1EEEvN5torch10headeronly6detail27GenericPackedTensorAccessorINS7_14TensorAccessorINS3_8ArrayRefIlEEKT_Lm4ENS6_16DefaultPtrTraitsEiEENS_6detail16IndexBoundsCheckILm5EiEESD_Lm5ESE_iEENS8_INS9_ISB_SC_Lm4ESE_iEESI_SC_Lm5ESE_iEESJ_iiiiiiiii: ; @_ZN2at6native12_GLOBAL__N_143conv_depthwise3d_cuda_backward_input_kernelIN3c104HalfEfLin1ELin1ELin1ELin1ELin1ELin1ELin1ELin1ELin1EEEvN5torch10headeronly6detail27GenericPackedTensorAccessorINS7_14TensorAccessorINS3_8ArrayRefIlEEKT_Lm4ENS6_16DefaultPtrTraitsEiEENS_6detail16IndexBoundsCheckILm5EiEESD_Lm5ESE_iEENS8_INS9_ISB_SC_Lm4ESE_iEESI_SC_Lm5ESE_iEESJ_iiiiiiiii
; %bb.0:
	s_load_dwordx4 s[20:23], s[4:5], 0x38
	s_load_dwordx2 s[34:35], s[4:5], 0x48
	s_load_dword s0, s[4:5], 0xc4
	v_mov_b32_e32 v1, 0
	v_mov_b32_e32 v3, s6
	s_waitcnt lgkmcnt(0)
	s_abs_i32 s33, s21
	v_cvt_f32_u32_e32 v2, s33
	s_add_u32 s2, s4, 0xb8
	s_addc_u32 s3, s5, 0
	s_and_b32 s6, s0, 0xffff
	v_rcp_iflag_f32_e32 v2, v2
	v_mad_u64_u32 v[0:1], s[0:1], s6, v3, v[0:1]
	s_mul_i32 s40, s35, s20
	v_mul_f32_e32 v2, 0x4f7ffffe, v2
	v_cvt_u32_f32_e32 v2, v2
	s_ashr_i32 s41, s40, 31
	v_cmp_gt_i64_e32 vcc, s[40:41], v[0:1]
	v_readfirstlane_b32 s0, v2
	s_and_saveexec_b64 s[8:9], vcc
	s_cbranch_execz .LBB26_19
; %bb.1:
	s_load_dwordx4 s[24:27], s[4:5], 0xc
	s_load_dwordx2 s[42:43], s[4:5], 0x0
	s_sub_i32 s7, 0, s33
	s_mul_i32 s9, s7, s0
	s_mul_hi_u32 s9, s0, s9
	s_waitcnt lgkmcnt(0)
	s_abs_i32 s8, s24
	s_add_i32 s0, s0, s9
	s_mul_hi_u32 s0, s8, s0
	s_mul_i32 s9, s0, s33
	s_ashr_i32 s20, s21, 31
	s_ashr_i32 s1, s24, 31
	s_sub_i32 s8, s8, s9
	s_xor_b32 s1, s1, s20
	s_add_i32 s9, s0, 1
	s_sub_i32 s10, s8, s33
	s_cmp_ge_u32 s8, s33
	s_cselect_b32 s0, s9, s0
	s_load_dwordx8 s[12:19], s[4:5], 0x90
	s_load_dword s24, s[4:5], 0xb0
	s_load_dwordx4 s[28:31], s[4:5], 0x70
	s_cselect_b32 s8, s10, s8
	s_add_i32 s9, s0, 1
	s_cmp_ge_u32 s8, s33
	s_cselect_b32 s0, s9, s0
	s_xor_b32 s0, s0, s1
	s_waitcnt lgkmcnt(0)
	s_sub_i32 s31, s0, s1
	s_cmp_gt_i32 s28, 0
	s_cselect_b64 s[44:45], -1, 0
	s_cmp_gt_i32 s29, 0
	s_cselect_b64 s[46:47], -1, 0
	s_cmp_gt_i32 s30, 0
	s_cselect_b64 s[48:49], -1, 0
	s_cmp_gt_i32 s31, 0
	s_cselect_b64 s[0:1], -1, 0
	s_abs_i32 s65, s34
	v_cvt_f32_u32_e32 v3, s65
	s_abs_i32 s67, s23
	v_cvt_f32_u32_e32 v4, s67
	s_load_dword s8, s[2:3], 0x0
	s_load_dwordx2 s[50:51], s[4:5], 0x1c
                                        ; kill: killed $sgpr2 killed $sgpr3
	s_load_dwordx2 s[52:53], s[4:5], 0x30
	v_rcp_iflag_f32_e32 v3, v3
	s_sub_i32 s2, 0, s65
	s_abs_i32 s69, s22
	v_rcp_iflag_f32_e32 v4, v4
	v_mul_f32_e32 v3, 0x4f7ffffe, v3
	v_cvt_u32_f32_e32 v3, v3
	v_cvt_f32_u32_e32 v6, s69
	v_mul_f32_e32 v4, 0x4f7ffffe, v4
	v_cvt_u32_f32_e32 v7, v4
	v_mul_lo_u32 v5, s2, v3
	v_rcp_iflag_f32_e32 v6, v6
	s_sub_i32 s2, 0, s67
	s_abs_i32 s71, s12
	v_mul_hi_u32 v5, v3, v5
	v_cvt_f32_u32_e32 v9, s71
	s_abs_i32 s73, s13
	s_abs_i32 s74, s14
	v_add_u32_e32 v4, v3, v5
	v_mul_f32_e32 v5, 0x4f7ffffe, v6
	v_mul_lo_u32 v3, s2, v7
	v_cvt_u32_f32_e32 v6, v5
	s_sub_i32 s2, 0, s69
	s_load_dword s64, s[4:5], 0x7c
	v_mul_hi_u32 v3, v7, v3
	v_mul_lo_u32 v8, s2, v6
	s_sub_i32 s2, 0, s71
	s_load_dwordx2 s[54:55], s[4:5], 0x60
	s_load_dwordx4 s[36:39], s[4:5], 0x50
	v_add_u32_e32 v5, v7, v3
	v_mul_hi_u32 v3, v6, v8
	v_mul_lo_u32 v7, s7, v2
	v_rcp_iflag_f32_e32 v8, v9
	v_cvt_f32_u32_e32 v9, s74
	v_add_u32_e32 v6, v6, v3
	v_mul_hi_u32 v3, v2, v7
	v_mul_f32_e32 v7, 0x4f7ffffe, v8
	v_cvt_u32_f32_e32 v8, v7
	v_cvt_f32_u32_e32 v7, s73
	s_waitcnt lgkmcnt(0)
	s_mul_i32 s66, s8, s6
	s_ashr_i32 s68, s34, 31
	v_mul_lo_u32 v10, s2, v8
	v_rcp_iflag_f32_e32 v11, v7
	v_add_u32_e32 v7, v2, v3
	v_rcp_iflag_f32_e32 v2, v9
	s_sub_i32 s2, 0, s73
	v_mul_f32_e32 v9, 0x4f7ffffe, v11
	v_cvt_u32_f32_e32 v9, v9
	v_mul_f32_e32 v2, 0x4f7ffffe, v2
	v_cvt_u32_f32_e32 v2, v2
	v_mul_hi_u32 v3, v8, v10
	v_mul_lo_u32 v10, s2, v9
	s_sub_i32 s2, 0, s74
	v_mul_lo_u32 v11, s2, v2
	v_add_u32_e32 v8, v8, v3
	v_mul_hi_u32 v10, v9, v10
	s_ashr_i32 s70, s23, 31
	v_mul_hi_u32 v3, v2, v11
	s_ashr_i32 s72, s22, 31
	v_add_u32_e32 v9, v9, v10
	s_ashr_i32 s75, s12, 31
	v_add_u32_e32 v10, v2, v3
	v_cndmask_b32_e64 v2, 0, 1, s[0:1]
	s_ashr_i32 s76, s13, 31
	s_ashr_i32 s77, s14, 31
	s_mov_b64 s[56:57], 0
	v_cmp_ne_u32_e64 s[0:1], 1, v2
	s_branch .LBB26_4
.LBB26_2:                               ;   in Loop: Header=BB26_4 Depth=1
	s_or_b64 exec, exec, s[58:59]
	v_cvt_f16_f32_e32 v2, v21
.LBB26_3:                               ;   in Loop: Header=BB26_4 Depth=1
	v_mul_lo_u32 v15, v15, s35
	v_mul_lo_u32 v14, s36, v14
	;; [unrolled: 1-line block ×3, first 2 shown]
	v_mov_b32_e32 v3, s53
	v_ashrrev_i32_e32 v16, 31, v15
	v_lshlrev_b64 v[15:16], 1, v[15:16]
	v_mul_lo_u32 v12, s38, v12
	v_add_co_u32_e32 v17, vcc, s52, v15
	v_ashrrev_i32_e32 v15, 31, v14
	v_lshlrev_b64 v[14:15], 1, v[14:15]
	v_addc_co_u32_e32 v3, vcc, v3, v16, vcc
	v_add_co_u32_e32 v16, vcc, v17, v14
	v_ashrrev_i32_e32 v14, 31, v13
	v_lshlrev_b64 v[13:14], 1, v[13:14]
	v_addc_co_u32_e32 v3, vcc, v3, v15, vcc
	v_add_co_u32_e32 v15, vcc, v16, v13
	v_ashrrev_i32_e32 v13, 31, v12
	v_lshlrev_b64 v[12:13], 1, v[12:13]
	v_mul_lo_u32 v11, s39, v11
	v_addc_co_u32_e32 v3, vcc, v3, v14, vcc
	v_add_co_u32_e32 v14, vcc, v15, v12
	v_addc_co_u32_e32 v3, vcc, v3, v13, vcc
	v_ashrrev_i32_e32 v12, 31, v11
	v_add_co_u32_e32 v0, vcc, s66, v0
	v_lshlrev_b64 v[11:12], 1, v[11:12]
	v_addc_co_u32_e32 v1, vcc, 0, v1, vcc
	v_cmp_le_i64_e32 vcc, s[40:41], v[0:1]
	v_add_co_u32_e64 v11, s[2:3], v14, v11
	v_addc_co_u32_e64 v12, s[2:3], v3, v12, s[2:3]
	s_or_b64 s[56:57], vcc, s[56:57]
	global_store_short v[11:12], v2, off
	s_andn2_b64 exec, exec, s[56:57]
	s_cbranch_execz .LBB26_19
.LBB26_4:                               ; =>This Loop Header: Depth=1
                                        ;     Child Loop BB26_7 Depth 2
                                        ;       Child Loop BB26_10 Depth 3
                                        ;         Child Loop BB26_13 Depth 4
                                        ;           Child Loop BB26_16 Depth 5
	v_sub_u32_e32 v2, 0, v0
	v_max_i32_e32 v2, v0, v2
	v_mul_hi_u32 v3, v2, v4
	v_ashrrev_i32_e32 v12, 31, v0
	v_xor_b32_e32 v12, s68, v12
	v_mul_lo_u32 v11, v3, s65
	v_add_u32_e32 v13, 1, v3
	v_sub_u32_e32 v2, v2, v11
	v_cmp_le_u32_e32 vcc, s65, v2
	v_subrev_u32_e32 v11, s65, v2
	v_cndmask_b32_e32 v3, v3, v13, vcc
	v_cndmask_b32_e32 v2, v2, v11, vcc
	v_add_u32_e32 v11, 1, v3
	v_cmp_le_u32_e32 vcc, s65, v2
	v_cndmask_b32_e32 v2, v3, v11, vcc
	v_xor_b32_e32 v2, v2, v12
	v_sub_u32_e32 v2, v2, v12
	v_sub_u32_e32 v3, 0, v2
	v_max_i32_e32 v3, v2, v3
	v_mul_hi_u32 v11, v3, v5
	v_ashrrev_i32_e32 v13, 31, v2
	v_xor_b32_e32 v13, s70, v13
	v_mul_lo_u32 v12, v11, s67
	v_add_u32_e32 v14, 1, v11
	v_sub_u32_e32 v3, v3, v12
	v_cmp_le_u32_e32 vcc, s67, v3
	v_subrev_u32_e32 v12, s67, v3
	v_cndmask_b32_e32 v11, v11, v14, vcc
	v_cndmask_b32_e32 v3, v3, v12, vcc
	v_add_u32_e32 v12, 1, v11
	v_cmp_le_u32_e32 vcc, s67, v3
	v_cndmask_b32_e32 v3, v11, v12, vcc
	v_xor_b32_e32 v3, v3, v13
	v_sub_u32_e32 v3, v3, v13
	v_sub_u32_e32 v11, 0, v3
	v_max_i32_e32 v11, v3, v11
	v_mul_hi_u32 v12, v11, v6
	v_ashrrev_i32_e32 v15, 31, v3
	v_xor_b32_e32 v15, s72, v15
	v_mul_lo_u32 v13, v2, s34
	v_mul_lo_u32 v14, v12, s69
	v_add_u32_e32 v16, 1, v12
	v_sub_u32_e32 v11, v11, v14
	v_cmp_le_u32_e32 vcc, s69, v11
	v_subrev_u32_e32 v14, s69, v11
	v_cndmask_b32_e32 v12, v12, v16, vcc
	v_cndmask_b32_e32 v11, v11, v14, vcc
	v_add_u32_e32 v14, 1, v12
	v_cmp_le_u32_e32 vcc, s69, v11
	v_cndmask_b32_e32 v11, v12, v14, vcc
	v_xor_b32_e32 v11, v11, v15
	v_sub_u32_e32 v14, v11, v15
	v_sub_u32_e32 v11, 0, v14
	v_max_i32_e32 v12, v14, v11
	v_mul_hi_u32 v15, v12, v7
	v_ashrrev_i32_e32 v18, 31, v14
	v_xor_b32_e32 v18, s20, v18
	v_sub_u32_e32 v11, v0, v13
	v_mul_lo_u32 v16, v15, s33
	v_mul_lo_u32 v13, v3, s23
	;; [unrolled: 1-line block ×3, first 2 shown]
	v_sub_u32_e32 v12, v12, v16
	v_add_u32_e32 v16, 1, v15
	v_cmp_le_u32_e32 vcc, s33, v12
	v_cndmask_b32_e32 v15, v15, v16, vcc
	v_subrev_u32_e32 v16, s33, v12
	v_cndmask_b32_e32 v12, v12, v16, vcc
	v_add_u32_e32 v16, 1, v15
	v_cmp_le_u32_e32 vcc, s33, v12
	v_cndmask_b32_e32 v12, v15, v16, vcc
	v_xor_b32_e32 v12, v12, v18
	v_sub_u32_e32 v15, v12, v18
	v_mul_lo_u32 v16, v15, s21
	v_sub_u32_e32 v12, v2, v13
	v_sub_u32_e32 v13, v3, v17
	s_and_b64 vcc, exec, s[0:1]
	v_sub_u32_e32 v14, v14, v16
	s_cbranch_vccnz .LBB26_18
; %bb.5:                                ;   in Loop: Header=BB26_4 Depth=1
	v_mul_lo_u32 v16, v14, s31
	v_mul_lo_u32 v21, s50, v15
	v_mov_b32_e32 v22, s55
	v_add_u32_e32 v17, s17, v11
	v_mul_lo_u32 v2, s64, v16
	v_add_u32_e32 v18, s16, v12
	v_add_u32_e32 v19, s15, v13
	;; [unrolled: 1-line block ×3, first 2 shown]
	v_ashrrev_i32_e32 v3, 31, v2
	v_lshlrev_b64 v[2:3], 1, v[2:3]
	s_mov_b64 s[58:59], 0
	v_add_co_u32_e32 v2, vcc, s54, v2
	v_addc_co_u32_e32 v3, vcc, v22, v3, vcc
	v_ashrrev_i32_e32 v22, 31, v21
	v_lshlrev_b64 v[22:23], 1, v[21:22]
	v_mov_b32_e32 v21, s43
	v_add_co_u32_e32 v22, vcc, s42, v22
	v_addc_co_u32_e32 v23, vcc, v21, v23, vcc
	v_mov_b32_e32 v21, 0
	s_branch .LBB26_7
.LBB26_6:                               ;   in Loop: Header=BB26_7 Depth=2
	v_add_u32_e32 v16, 1, v16
	v_cmp_ge_i32_e32 vcc, v16, v20
	s_or_b64 s[58:59], vcc, s[58:59]
	s_andn2_b64 exec, exec, s[58:59]
	s_cbranch_execz .LBB26_2
.LBB26_7:                               ;   Parent Loop BB26_4 Depth=1
                                        ; =>  This Loop Header: Depth=2
                                        ;       Child Loop BB26_10 Depth 3
                                        ;         Child Loop BB26_13 Depth 4
                                        ;           Child Loop BB26_16 Depth 5
	s_andn2_b64 vcc, exec, s[44:45]
	s_cbranch_vccnz .LBB26_6
; %bb.8:                                ;   in Loop: Header=BB26_7 Depth=2
	v_mul_lo_u32 v24, s51, v16
	s_mov_b32 s78, 0
	v_ashrrev_i32_e32 v25, 31, v24
	v_lshlrev_b64 v[24:25], 1, v[24:25]
	v_add_co_u32_e32 v24, vcc, v22, v24
	v_addc_co_u32_e32 v25, vcc, v23, v25, vcc
	s_branch .LBB26_10
.LBB26_9:                               ;   in Loop: Header=BB26_10 Depth=3
	s_add_i32 s78, s78, 1
	s_cmp_eq_u32 s78, s28
	s_cbranch_scc1 .LBB26_6
.LBB26_10:                              ;   Parent Loop BB26_4 Depth=1
                                        ;     Parent Loop BB26_7 Depth=2
                                        ; =>    This Loop Header: Depth=3
                                        ;         Child Loop BB26_13 Depth 4
                                        ;           Child Loop BB26_16 Depth 5
	s_andn2_b64 vcc, exec, s[46:47]
	s_cbranch_vccnz .LBB26_9
; %bb.11:                               ;   in Loop: Header=BB26_10 Depth=3
	s_mul_i32 s2, s18, s78
	v_subrev_u32_e32 v27, s2, v19
	v_sub_u32_e32 v28, 0, v27
	v_max_i32_e32 v28, v27, v28
	v_mul_hi_u32 v29, v28, v8
	v_ashrrev_i32_e32 v26, 31, v27
	v_xor_b32_e32 v26, s75, v26
	s_mov_b32 s79, 0
	v_mul_lo_u32 v30, v29, s71
	v_sub_u32_e32 v28, v28, v30
	v_cmp_le_u32_e32 vcc, s71, v28
	v_add_u32_e32 v30, 1, v29
	v_cndmask_b32_e32 v29, v29, v30, vcc
	v_subrev_u32_e32 v30, s71, v28
	v_cndmask_b32_e32 v28, v28, v30, vcc
	v_cmp_le_u32_e32 vcc, s71, v28
	v_add_u32_e32 v28, 1, v29
	v_cndmask_b32_e32 v28, v29, v28, vcc
	v_xor_b32_e32 v28, v28, v26
	v_sub_u32_e32 v28, v28, v26
	v_cmp_lt_i32_e64 s[2:3], -1, v28
	v_cmp_gt_i32_e64 s[4:5], s25, v28
	v_mul_lo_u32 v26, v28, s26
	v_mul_lo_u32 v28, v28, s12
	v_cmp_eq_u32_e64 s[6:7], v28, v27
	s_branch .LBB26_13
.LBB26_12:                              ;   in Loop: Header=BB26_13 Depth=4
	s_add_i32 s79, s79, 1
	s_cmp_eq_u32 s79, s29
	s_cbranch_scc1 .LBB26_9
.LBB26_13:                              ;   Parent Loop BB26_4 Depth=1
                                        ;     Parent Loop BB26_7 Depth=2
                                        ;       Parent Loop BB26_10 Depth=3
                                        ; =>      This Loop Header: Depth=4
                                        ;           Child Loop BB26_16 Depth 5
	s_andn2_b64 vcc, exec, s[48:49]
	s_cbranch_vccnz .LBB26_12
; %bb.14:                               ;   in Loop: Header=BB26_13 Depth=4
	s_mul_i32 s8, s19, s79
	v_subrev_u32_e32 v28, s8, v18
	v_sub_u32_e32 v27, 0, v28
	v_max_i32_e32 v27, v28, v27
	v_mul_hi_u32 v29, v27, v9
	v_ashrrev_i32_e32 v31, 31, v28
	v_xor_b32_e32 v31, s76, v31
	s_mov_b32 s80, s30
	v_mul_lo_u32 v30, v29, s73
	v_add_u32_e32 v32, 1, v29
	v_sub_u32_e32 v27, v27, v30
	v_cmp_le_u32_e32 vcc, s73, v27
	v_subrev_u32_e32 v30, s73, v27
	v_cndmask_b32_e32 v29, v29, v32, vcc
	v_cndmask_b32_e32 v27, v27, v30, vcc
	v_add_u32_e32 v30, 1, v29
	v_cmp_le_u32_e32 vcc, s73, v27
	v_cndmask_b32_e32 v27, v29, v30, vcc
	v_xor_b32_e32 v27, v27, v31
	v_sub_u32_e32 v27, v27, v31
	v_mul_lo_u32 v29, v27, s13
	v_cmp_lt_i32_e32 vcc, -1, v27
	v_cmp_gt_i32_e64 s[8:9], s26, v27
	v_add_u32_e32 v27, v27, v26
	v_mul_lo_u32 v27, v27, s27
	v_cmp_eq_u32_e64 s[10:11], v29, v28
	s_and_b64 s[60:61], s[6:7], s[10:11]
	v_mov_b32_e32 v28, v17
	s_branch .LBB26_16
.LBB26_15:                              ;   in Loop: Header=BB26_16 Depth=5
	s_or_b64 exec, exec, s[62:63]
	v_mul_lo_u32 v30, v30, s14
	v_add_co_u32_e64 v2, s[10:11], 2, v2
	v_addc_co_u32_e64 v3, s[10:11], 0, v3, s[10:11]
	v_cmp_eq_u32_e64 s[10:11], v28, v30
	s_waitcnt vmcnt(0)
	v_fma_mix_f32 v29, v31, v29, v21 op_sel_hi:[0,1,0]
	s_and_b64 s[10:11], s[60:61], s[10:11]
	s_add_i32 s80, s80, -1
	v_cndmask_b32_e64 v21, v21, v29, s[10:11]
	s_cmp_eq_u32 s80, 0
	v_subrev_u32_e32 v28, s24, v28
	s_cbranch_scc1 .LBB26_12
.LBB26_16:                              ;   Parent Loop BB26_4 Depth=1
                                        ;     Parent Loop BB26_7 Depth=2
                                        ;       Parent Loop BB26_10 Depth=3
                                        ;         Parent Loop BB26_13 Depth=4
                                        ; =>        This Inner Loop Header: Depth=5
	global_load_ushort v29, v[2:3], off
	v_sub_u32_e32 v30, 0, v28
	v_max_i32_e32 v30, v28, v30
	v_mul_hi_u32 v31, v30, v10
	v_ashrrev_i32_e32 v33, 31, v28
	v_xor_b32_e32 v33, s77, v33
	v_mul_lo_u32 v32, v31, s74
	v_sub_u32_e32 v30, v30, v32
	v_add_u32_e32 v32, 1, v31
	v_cmp_le_u32_e64 s[10:11], s74, v30
	v_cndmask_b32_e64 v31, v31, v32, s[10:11]
	v_subrev_u32_e32 v32, s74, v30
	v_cndmask_b32_e64 v30, v30, v32, s[10:11]
	v_add_u32_e32 v32, 1, v31
	v_cmp_le_u32_e64 s[10:11], s74, v30
	v_cndmask_b32_e64 v30, v31, v32, s[10:11]
	v_xor_b32_e32 v30, v30, v33
	v_sub_u32_e32 v30, v30, v33
	v_cmp_lt_i32_e64 s[10:11], -1, v30
	s_and_b64 s[10:11], s[10:11], vcc
	s_and_b64 s[62:63], s[10:11], s[2:3]
	v_cmp_gt_i32_e64 s[10:11], s27, v30
	s_and_b64 s[10:11], s[10:11], s[62:63]
	s_and_b64 s[10:11], s[10:11], s[8:9]
	;; [unrolled: 1-line block ×3, first 2 shown]
	v_mov_b32_e32 v31, 0
	s_and_saveexec_b64 s[62:63], s[10:11]
	s_cbranch_execz .LBB26_15
; %bb.17:                               ;   in Loop: Header=BB26_16 Depth=5
	v_add_u32_e32 v31, v30, v27
	v_ashrrev_i32_e32 v32, 31, v31
	v_lshlrev_b64 v[31:32], 1, v[31:32]
	v_add_co_u32_e64 v31, s[10:11], v24, v31
	v_addc_co_u32_e64 v32, s[10:11], v25, v32, s[10:11]
	global_load_ushort v31, v[31:32], off
	s_waitcnt vmcnt(0)
	v_cvt_f32_f16_e32 v31, v31
	s_branch .LBB26_15
.LBB26_18:                              ;   in Loop: Header=BB26_4 Depth=1
	v_mov_b32_e32 v2, 0
	s_branch .LBB26_3
.LBB26_19:
	s_endpgm
	.section	.rodata,"a",@progbits
	.p2align	6, 0x0
	.amdhsa_kernel _ZN2at6native12_GLOBAL__N_143conv_depthwise3d_cuda_backward_input_kernelIN3c104HalfEfLin1ELin1ELin1ELin1ELin1ELin1ELin1ELin1ELin1EEEvN5torch10headeronly6detail27GenericPackedTensorAccessorINS7_14TensorAccessorINS3_8ArrayRefIlEEKT_Lm4ENS6_16DefaultPtrTraitsEiEENS_6detail16IndexBoundsCheckILm5EiEESD_Lm5ESE_iEENS8_INS9_ISB_SC_Lm4ESE_iEESI_SC_Lm5ESE_iEESJ_iiiiiiiii
		.amdhsa_group_segment_fixed_size 0
		.amdhsa_private_segment_fixed_size 0
		.amdhsa_kernarg_size 440
		.amdhsa_user_sgpr_count 6
		.amdhsa_user_sgpr_private_segment_buffer 1
		.amdhsa_user_sgpr_dispatch_ptr 0
		.amdhsa_user_sgpr_queue_ptr 0
		.amdhsa_user_sgpr_kernarg_segment_ptr 1
		.amdhsa_user_sgpr_dispatch_id 0
		.amdhsa_user_sgpr_flat_scratch_init 0
		.amdhsa_user_sgpr_private_segment_size 0
		.amdhsa_uses_dynamic_stack 0
		.amdhsa_system_sgpr_private_segment_wavefront_offset 0
		.amdhsa_system_sgpr_workgroup_id_x 1
		.amdhsa_system_sgpr_workgroup_id_y 0
		.amdhsa_system_sgpr_workgroup_id_z 0
		.amdhsa_system_sgpr_workgroup_info 0
		.amdhsa_system_vgpr_workitem_id 0
		.amdhsa_next_free_vgpr 34
		.amdhsa_next_free_sgpr 81
		.amdhsa_reserve_vcc 1
		.amdhsa_reserve_flat_scratch 0
		.amdhsa_float_round_mode_32 0
		.amdhsa_float_round_mode_16_64 0
		.amdhsa_float_denorm_mode_32 3
		.amdhsa_float_denorm_mode_16_64 3
		.amdhsa_dx10_clamp 1
		.amdhsa_ieee_mode 1
		.amdhsa_fp16_overflow 0
		.amdhsa_exception_fp_ieee_invalid_op 0
		.amdhsa_exception_fp_denorm_src 0
		.amdhsa_exception_fp_ieee_div_zero 0
		.amdhsa_exception_fp_ieee_overflow 0
		.amdhsa_exception_fp_ieee_underflow 0
		.amdhsa_exception_fp_ieee_inexact 0
		.amdhsa_exception_int_div_zero 0
	.end_amdhsa_kernel
	.section	.text._ZN2at6native12_GLOBAL__N_143conv_depthwise3d_cuda_backward_input_kernelIN3c104HalfEfLin1ELin1ELin1ELin1ELin1ELin1ELin1ELin1ELin1EEEvN5torch10headeronly6detail27GenericPackedTensorAccessorINS7_14TensorAccessorINS3_8ArrayRefIlEEKT_Lm4ENS6_16DefaultPtrTraitsEiEENS_6detail16IndexBoundsCheckILm5EiEESD_Lm5ESE_iEENS8_INS9_ISB_SC_Lm4ESE_iEESI_SC_Lm5ESE_iEESJ_iiiiiiiii,"axG",@progbits,_ZN2at6native12_GLOBAL__N_143conv_depthwise3d_cuda_backward_input_kernelIN3c104HalfEfLin1ELin1ELin1ELin1ELin1ELin1ELin1ELin1ELin1EEEvN5torch10headeronly6detail27GenericPackedTensorAccessorINS7_14TensorAccessorINS3_8ArrayRefIlEEKT_Lm4ENS6_16DefaultPtrTraitsEiEENS_6detail16IndexBoundsCheckILm5EiEESD_Lm5ESE_iEENS8_INS9_ISB_SC_Lm4ESE_iEESI_SC_Lm5ESE_iEESJ_iiiiiiiii,comdat
.Lfunc_end26:
	.size	_ZN2at6native12_GLOBAL__N_143conv_depthwise3d_cuda_backward_input_kernelIN3c104HalfEfLin1ELin1ELin1ELin1ELin1ELin1ELin1ELin1ELin1EEEvN5torch10headeronly6detail27GenericPackedTensorAccessorINS7_14TensorAccessorINS3_8ArrayRefIlEEKT_Lm4ENS6_16DefaultPtrTraitsEiEENS_6detail16IndexBoundsCheckILm5EiEESD_Lm5ESE_iEENS8_INS9_ISB_SC_Lm4ESE_iEESI_SC_Lm5ESE_iEESJ_iiiiiiiii, .Lfunc_end26-_ZN2at6native12_GLOBAL__N_143conv_depthwise3d_cuda_backward_input_kernelIN3c104HalfEfLin1ELin1ELin1ELin1ELin1ELin1ELin1ELin1ELin1EEEvN5torch10headeronly6detail27GenericPackedTensorAccessorINS7_14TensorAccessorINS3_8ArrayRefIlEEKT_Lm4ENS6_16DefaultPtrTraitsEiEENS_6detail16IndexBoundsCheckILm5EiEESD_Lm5ESE_iEENS8_INS9_ISB_SC_Lm4ESE_iEESI_SC_Lm5ESE_iEESJ_iiiiiiiii
                                        ; -- End function
	.set _ZN2at6native12_GLOBAL__N_143conv_depthwise3d_cuda_backward_input_kernelIN3c104HalfEfLin1ELin1ELin1ELin1ELin1ELin1ELin1ELin1ELin1EEEvN5torch10headeronly6detail27GenericPackedTensorAccessorINS7_14TensorAccessorINS3_8ArrayRefIlEEKT_Lm4ENS6_16DefaultPtrTraitsEiEENS_6detail16IndexBoundsCheckILm5EiEESD_Lm5ESE_iEENS8_INS9_ISB_SC_Lm4ESE_iEESI_SC_Lm5ESE_iEESJ_iiiiiiiii.num_vgpr, 34
	.set _ZN2at6native12_GLOBAL__N_143conv_depthwise3d_cuda_backward_input_kernelIN3c104HalfEfLin1ELin1ELin1ELin1ELin1ELin1ELin1ELin1ELin1EEEvN5torch10headeronly6detail27GenericPackedTensorAccessorINS7_14TensorAccessorINS3_8ArrayRefIlEEKT_Lm4ENS6_16DefaultPtrTraitsEiEENS_6detail16IndexBoundsCheckILm5EiEESD_Lm5ESE_iEENS8_INS9_ISB_SC_Lm4ESE_iEESI_SC_Lm5ESE_iEESJ_iiiiiiiii.num_agpr, 0
	.set _ZN2at6native12_GLOBAL__N_143conv_depthwise3d_cuda_backward_input_kernelIN3c104HalfEfLin1ELin1ELin1ELin1ELin1ELin1ELin1ELin1ELin1EEEvN5torch10headeronly6detail27GenericPackedTensorAccessorINS7_14TensorAccessorINS3_8ArrayRefIlEEKT_Lm4ENS6_16DefaultPtrTraitsEiEENS_6detail16IndexBoundsCheckILm5EiEESD_Lm5ESE_iEENS8_INS9_ISB_SC_Lm4ESE_iEESI_SC_Lm5ESE_iEESJ_iiiiiiiii.numbered_sgpr, 81
	.set _ZN2at6native12_GLOBAL__N_143conv_depthwise3d_cuda_backward_input_kernelIN3c104HalfEfLin1ELin1ELin1ELin1ELin1ELin1ELin1ELin1ELin1EEEvN5torch10headeronly6detail27GenericPackedTensorAccessorINS7_14TensorAccessorINS3_8ArrayRefIlEEKT_Lm4ENS6_16DefaultPtrTraitsEiEENS_6detail16IndexBoundsCheckILm5EiEESD_Lm5ESE_iEENS8_INS9_ISB_SC_Lm4ESE_iEESI_SC_Lm5ESE_iEESJ_iiiiiiiii.num_named_barrier, 0
	.set _ZN2at6native12_GLOBAL__N_143conv_depthwise3d_cuda_backward_input_kernelIN3c104HalfEfLin1ELin1ELin1ELin1ELin1ELin1ELin1ELin1ELin1EEEvN5torch10headeronly6detail27GenericPackedTensorAccessorINS7_14TensorAccessorINS3_8ArrayRefIlEEKT_Lm4ENS6_16DefaultPtrTraitsEiEENS_6detail16IndexBoundsCheckILm5EiEESD_Lm5ESE_iEENS8_INS9_ISB_SC_Lm4ESE_iEESI_SC_Lm5ESE_iEESJ_iiiiiiiii.private_seg_size, 0
	.set _ZN2at6native12_GLOBAL__N_143conv_depthwise3d_cuda_backward_input_kernelIN3c104HalfEfLin1ELin1ELin1ELin1ELin1ELin1ELin1ELin1ELin1EEEvN5torch10headeronly6detail27GenericPackedTensorAccessorINS7_14TensorAccessorINS3_8ArrayRefIlEEKT_Lm4ENS6_16DefaultPtrTraitsEiEENS_6detail16IndexBoundsCheckILm5EiEESD_Lm5ESE_iEENS8_INS9_ISB_SC_Lm4ESE_iEESI_SC_Lm5ESE_iEESJ_iiiiiiiii.uses_vcc, 1
	.set _ZN2at6native12_GLOBAL__N_143conv_depthwise3d_cuda_backward_input_kernelIN3c104HalfEfLin1ELin1ELin1ELin1ELin1ELin1ELin1ELin1ELin1EEEvN5torch10headeronly6detail27GenericPackedTensorAccessorINS7_14TensorAccessorINS3_8ArrayRefIlEEKT_Lm4ENS6_16DefaultPtrTraitsEiEENS_6detail16IndexBoundsCheckILm5EiEESD_Lm5ESE_iEENS8_INS9_ISB_SC_Lm4ESE_iEESI_SC_Lm5ESE_iEESJ_iiiiiiiii.uses_flat_scratch, 0
	.set _ZN2at6native12_GLOBAL__N_143conv_depthwise3d_cuda_backward_input_kernelIN3c104HalfEfLin1ELin1ELin1ELin1ELin1ELin1ELin1ELin1ELin1EEEvN5torch10headeronly6detail27GenericPackedTensorAccessorINS7_14TensorAccessorINS3_8ArrayRefIlEEKT_Lm4ENS6_16DefaultPtrTraitsEiEENS_6detail16IndexBoundsCheckILm5EiEESD_Lm5ESE_iEENS8_INS9_ISB_SC_Lm4ESE_iEESI_SC_Lm5ESE_iEESJ_iiiiiiiii.has_dyn_sized_stack, 0
	.set _ZN2at6native12_GLOBAL__N_143conv_depthwise3d_cuda_backward_input_kernelIN3c104HalfEfLin1ELin1ELin1ELin1ELin1ELin1ELin1ELin1ELin1EEEvN5torch10headeronly6detail27GenericPackedTensorAccessorINS7_14TensorAccessorINS3_8ArrayRefIlEEKT_Lm4ENS6_16DefaultPtrTraitsEiEENS_6detail16IndexBoundsCheckILm5EiEESD_Lm5ESE_iEENS8_INS9_ISB_SC_Lm4ESE_iEESI_SC_Lm5ESE_iEESJ_iiiiiiiii.has_recursion, 0
	.set _ZN2at6native12_GLOBAL__N_143conv_depthwise3d_cuda_backward_input_kernelIN3c104HalfEfLin1ELin1ELin1ELin1ELin1ELin1ELin1ELin1ELin1EEEvN5torch10headeronly6detail27GenericPackedTensorAccessorINS7_14TensorAccessorINS3_8ArrayRefIlEEKT_Lm4ENS6_16DefaultPtrTraitsEiEENS_6detail16IndexBoundsCheckILm5EiEESD_Lm5ESE_iEENS8_INS9_ISB_SC_Lm4ESE_iEESI_SC_Lm5ESE_iEESJ_iiiiiiiii.has_indirect_call, 0
	.section	.AMDGPU.csdata,"",@progbits
; Kernel info:
; codeLenInByte = 2008
; TotalNumSgprs: 85
; NumVgprs: 34
; ScratchSize: 0
; MemoryBound: 0
; FloatMode: 240
; IeeeMode: 1
; LDSByteSize: 0 bytes/workgroup (compile time only)
; SGPRBlocks: 10
; VGPRBlocks: 8
; NumSGPRsForWavesPerEU: 85
; NumVGPRsForWavesPerEU: 34
; Occupancy: 7
; WaveLimiterHint : 0
; COMPUTE_PGM_RSRC2:SCRATCH_EN: 0
; COMPUTE_PGM_RSRC2:USER_SGPR: 6
; COMPUTE_PGM_RSRC2:TRAP_HANDLER: 0
; COMPUTE_PGM_RSRC2:TGID_X_EN: 1
; COMPUTE_PGM_RSRC2:TGID_Y_EN: 0
; COMPUTE_PGM_RSRC2:TGID_Z_EN: 0
; COMPUTE_PGM_RSRC2:TIDIG_COMP_CNT: 0
	.section	.text._ZN2at6native12_GLOBAL__N_143conv_depthwise3d_cuda_backward_input_kernelIN3c108BFloat16EfLi3ELi3ELi3ELi1ELi1ELi1ELi1ELi1ELi1EEEvN5torch10headeronly6detail27GenericPackedTensorAccessorINS7_14TensorAccessorINS3_8ArrayRefIlEEKT_Lm4ENS6_16DefaultPtrTraitsEiEENS_6detail16IndexBoundsCheckILm5EiEESD_Lm5ESE_iEENS8_INS9_ISB_SC_Lm4ESE_iEESI_SC_Lm5ESE_iEESJ_iiiiiiiii,"axG",@progbits,_ZN2at6native12_GLOBAL__N_143conv_depthwise3d_cuda_backward_input_kernelIN3c108BFloat16EfLi3ELi3ELi3ELi1ELi1ELi1ELi1ELi1ELi1EEEvN5torch10headeronly6detail27GenericPackedTensorAccessorINS7_14TensorAccessorINS3_8ArrayRefIlEEKT_Lm4ENS6_16DefaultPtrTraitsEiEENS_6detail16IndexBoundsCheckILm5EiEESD_Lm5ESE_iEENS8_INS9_ISB_SC_Lm4ESE_iEESI_SC_Lm5ESE_iEESJ_iiiiiiiii,comdat
	.globl	_ZN2at6native12_GLOBAL__N_143conv_depthwise3d_cuda_backward_input_kernelIN3c108BFloat16EfLi3ELi3ELi3ELi1ELi1ELi1ELi1ELi1ELi1EEEvN5torch10headeronly6detail27GenericPackedTensorAccessorINS7_14TensorAccessorINS3_8ArrayRefIlEEKT_Lm4ENS6_16DefaultPtrTraitsEiEENS_6detail16IndexBoundsCheckILm5EiEESD_Lm5ESE_iEENS8_INS9_ISB_SC_Lm4ESE_iEESI_SC_Lm5ESE_iEESJ_iiiiiiiii ; -- Begin function _ZN2at6native12_GLOBAL__N_143conv_depthwise3d_cuda_backward_input_kernelIN3c108BFloat16EfLi3ELi3ELi3ELi1ELi1ELi1ELi1ELi1ELi1EEEvN5torch10headeronly6detail27GenericPackedTensorAccessorINS7_14TensorAccessorINS3_8ArrayRefIlEEKT_Lm4ENS6_16DefaultPtrTraitsEiEENS_6detail16IndexBoundsCheckILm5EiEESD_Lm5ESE_iEENS8_INS9_ISB_SC_Lm4ESE_iEESI_SC_Lm5ESE_iEESJ_iiiiiiiii
	.p2align	8
	.type	_ZN2at6native12_GLOBAL__N_143conv_depthwise3d_cuda_backward_input_kernelIN3c108BFloat16EfLi3ELi3ELi3ELi1ELi1ELi1ELi1ELi1ELi1EEEvN5torch10headeronly6detail27GenericPackedTensorAccessorINS7_14TensorAccessorINS3_8ArrayRefIlEEKT_Lm4ENS6_16DefaultPtrTraitsEiEENS_6detail16IndexBoundsCheckILm5EiEESD_Lm5ESE_iEENS8_INS9_ISB_SC_Lm4ESE_iEESI_SC_Lm5ESE_iEESJ_iiiiiiiii,@function
_ZN2at6native12_GLOBAL__N_143conv_depthwise3d_cuda_backward_input_kernelIN3c108BFloat16EfLi3ELi3ELi3ELi1ELi1ELi1ELi1ELi1ELi1EEEvN5torch10headeronly6detail27GenericPackedTensorAccessorINS7_14TensorAccessorINS3_8ArrayRefIlEEKT_Lm4ENS6_16DefaultPtrTraitsEiEENS_6detail16IndexBoundsCheckILm5EiEESD_Lm5ESE_iEENS8_INS9_ISB_SC_Lm4ESE_iEESI_SC_Lm5ESE_iEESJ_iiiiiiiii: ; @_ZN2at6native12_GLOBAL__N_143conv_depthwise3d_cuda_backward_input_kernelIN3c108BFloat16EfLi3ELi3ELi3ELi1ELi1ELi1ELi1ELi1ELi1EEEvN5torch10headeronly6detail27GenericPackedTensorAccessorINS7_14TensorAccessorINS3_8ArrayRefIlEEKT_Lm4ENS6_16DefaultPtrTraitsEiEENS_6detail16IndexBoundsCheckILm5EiEESD_Lm5ESE_iEENS8_INS9_ISB_SC_Lm4ESE_iEESI_SC_Lm5ESE_iEESJ_iiiiiiiii
; %bb.0:
	s_load_dwordx4 s[36:39], s[4:5], 0x38
	s_load_dwordx2 s[34:35], s[4:5], 0x48
	s_mov_b64 s[98:99], s[2:3]
	s_mov_b64 s[96:97], s[0:1]
	s_add_u32 s96, s96, s7
	s_addc_u32 s97, s97, 0
	s_waitcnt lgkmcnt(0)
	s_abs_i32 s33, s37
	v_cvt_f32_u32_e32 v2, s33
	s_load_dword s2, s[4:5], 0xc4
	s_add_u32 s0, s4, 0xb8
	v_mov_b32_e32 v1, 0
	v_rcp_iflag_f32_e32 v2, v2
	v_mov_b32_e32 v3, s6
	s_addc_u32 s1, s5, 0
	s_waitcnt lgkmcnt(0)
	s_and_b32 s2, s2, 0xffff
	v_mul_f32_e32 v2, 0x4f7ffffe, v2
	v_mad_u64_u32 v[9:10], s[6:7], s2, v3, v[0:1]
	v_cvt_u32_f32_e32 v0, v2
	s_mul_i32 s6, s35, s36
	s_ashr_i32 s7, s6, 31
                                        ; implicit-def: $vgpr63 : SGPR spill to VGPR lane
	v_writelane_b32 v63, s6, 0
	v_cmp_gt_i64_e32 vcc, s[6:7], v[9:10]
	v_writelane_b32 v63, s7, 1
	v_readfirstlane_b32 s3, v0
	s_and_saveexec_b64 s[6:7], vcc
	s_cbranch_execz .LBB27_62
; %bb.1:
	s_load_dwordx4 s[40:43], s[4:5], 0xc
	s_load_dwordx2 s[6:7], s[4:5], 0x0
	s_sub_i32 s8, 0, s33
	s_mul_i32 s9, s8, s3
	s_mul_hi_u32 s9, s3, s9
	s_add_i32 s3, s3, s9
	s_waitcnt lgkmcnt(0)
	v_writelane_b32 v63, s6, 2
	v_writelane_b32 v63, s7, 3
	s_abs_i32 s7, s40
	s_mul_hi_u32 s3, s7, s3
	s_mul_i32 s9, s3, s33
	s_ashr_i32 s10, s37, 31
	s_ashr_i32 s6, s40, 31
	s_sub_i32 s7, s7, s9
	v_writelane_b32 v63, s10, 4
	s_xor_b32 s6, s6, s10
	s_add_i32 s9, s3, 1
	s_sub_i32 s10, s7, s33
	s_cmp_ge_u32 s7, s33
	s_cselect_b32 s3, s9, s3
	s_cselect_b32 s7, s10, s7
	s_add_i32 s9, s3, 1
	s_cmp_ge_u32 s7, s33
	s_cselect_b32 s3, s9, s3
	s_xor_b32 s3, s3, s6
	s_sub_i32 s40, s3, s6
	s_cmp_gt_i32 s40, 0
	s_cselect_b64 s[6:7], -1, 0
	s_abs_i32 s36, s34
	v_cvt_f32_u32_e32 v1, s36
	s_load_dword s0, s[0:1], 0x0
	s_nop 0
	s_load_dwordx4 s[44:47], s[4:5], 0x9c
	s_load_dword s1, s[4:5], 0x7c
	s_load_dwordx2 s[10:11], s[4:5], 0x60
	s_load_dwordx4 s[48:51], s[4:5], 0x50
	v_rcp_iflag_f32_e32 v1, v1
	s_waitcnt lgkmcnt(0)
	s_mul_i32 s0, s0, s2
	v_writelane_b32 v63, s1, 5
	v_writelane_b32 v63, s10, 6
	v_mul_f32_e32 v1, 0x4f7ffffe, v1
	v_cvt_u32_f32_e32 v1, v1
	v_writelane_b32 v63, s11, 7
	v_writelane_b32 v63, s0, 8
	s_sub_i32 s0, 0, s36
	v_mul_lo_u32 v2, s0, v1
	s_abs_i32 s47, s39
	v_cvt_f32_u32_e32 v3, s47
	s_abs_i32 s60, s38
	v_cvt_f32_u32_e32 v4, s60
	v_mul_hi_u32 v2, v1, v2
	v_rcp_iflag_f32_e32 v3, v3
	s_load_dwordx2 s[56:57], s[4:5], 0x1c
	s_load_dwordx2 s[58:59], s[4:5], 0x30
	v_rcp_iflag_f32_e32 v4, v4
	v_add_u32_e32 v1, v1, v2
	buffer_store_dword v1, off, s[96:99], 0 offset:256 ; 4-byte Folded Spill
	v_mul_f32_e32 v1, 0x4f7ffffe, v3
	v_cvt_u32_f32_e32 v1, v1
	v_mul_f32_e32 v2, 0x4f7ffffe, v4
	v_cvt_u32_f32_e32 v2, v2
	v_mul_lo_u32 v5, s8, v0
	s_ashr_i32 s0, s34, 31
	v_writelane_b32 v63, s0, 9
	s_sub_i32 s0, 0, s47
	v_mul_lo_u32 v3, s0, v1
	s_sub_i32 s0, 0, s60
	v_mul_lo_u32 v4, s0, v2
	v_mul_hi_u32 v5, v0, v5
	v_mul_hi_u32 v3, v1, v3
	s_ashr_i32 s0, s39, 31
	v_mul_hi_u32 v4, v2, v4
	v_add_u32_e32 v0, v0, v5
	buffer_store_dword v0, off, s[96:99], 0 offset:268 ; 4-byte Folded Spill
	v_cndmask_b32_e64 v0, 0, 1, s[6:7]
	v_writelane_b32 v63, s0, 10
	v_cmp_ne_u32_e64 s[0:1], 1, v0
	v_add_u32_e32 v1, v1, v3
	v_writelane_b32 v63, s0, 11
	buffer_store_dword v1, off, s[96:99], 0 offset:260 ; 4-byte Folded Spill
	s_ashr_i32 s61, s38, 31
	v_add_u32_e32 v1, v2, v4
	s_mov_b64 s[62:63], 0
	v_writelane_b32 v63, s1, 12
                                        ; kill: killed $sgpr4 killed $sgpr5
	buffer_store_dword v1, off, s[96:99], 0 offset:264 ; 4-byte Folded Spill
	s_branch .LBB27_4
.LBB27_2:                               ;   in Loop: Header=BB27_4 Depth=1
	s_or_b64 exec, exec, s[88:89]
	buffer_load_dword v9, off, s[96:99], 0 offset:228 ; 4-byte Folded Reload
	buffer_load_dword v10, off, s[96:99], 0 offset:232 ; 4-byte Folded Reload
	;; [unrolled: 1-line block ×7, first 2 shown]
.LBB27_3:                               ;   in Loop: Header=BB27_4 Depth=1
	v_bfe_u32 v1, v0, 16, 1
	s_movk_i32 s0, 0x7fff
	v_add3_u32 v2, v0, v1, s0
	s_waitcnt vmcnt(0)
	v_mul_lo_u32 v1, v23, s35
	v_cmp_o_f32_e32 vcc, v0, v0
	v_mov_b32_e32 v0, 0x7fc0
	v_cndmask_b32_sdwa v4, v0, v2, vcc dst_sel:DWORD dst_unused:UNUSED_PAD src0_sel:DWORD src1_sel:WORD_1
	v_ashrrev_i32_e32 v2, 31, v1
	v_lshlrev_b64 v[0:1], 1, v[1:2]
	v_mul_lo_u32 v2, s48, v57
	s_waitcnt lgkmcnt(0)
	v_mov_b32_e32 v3, s59
	v_add_co_u32_e32 v5, vcc, s58, v0
	v_addc_co_u32_e32 v6, vcc, v3, v1, vcc
	v_ashrrev_i32_e32 v3, 31, v2
	v_lshlrev_b64 v[0:1], 1, v[2:3]
	v_mul_lo_u32 v2, s49, v7
	v_add_co_u32_e32 v5, vcc, v5, v0
	v_addc_co_u32_e32 v6, vcc, v6, v1, vcc
	v_ashrrev_i32_e32 v3, 31, v2
	v_lshlrev_b64 v[0:1], 1, v[2:3]
	v_mul_lo_u32 v2, s50, v8
	;; [unrolled: 5-line block ×3, first 2 shown]
	v_add_co_u32_e32 v5, vcc, v5, v0
	v_addc_co_u32_e32 v6, vcc, v6, v1, vcc
	v_readlane_b32 s0, v63, 8
	v_ashrrev_i32_e32 v3, 31, v2
	v_add_co_u32_e32 v9, vcc, s0, v9
	v_readlane_b32 s0, v63, 0
	v_lshlrev_b64 v[0:1], 1, v[2:3]
	v_addc_co_u32_e32 v10, vcc, 0, v10, vcc
	v_readlane_b32 s1, v63, 1
	v_cmp_le_i64_e32 vcc, s[0:1], v[9:10]
	v_add_co_u32_e64 v0, s[2:3], v5, v0
	v_addc_co_u32_e64 v1, s[2:3], v6, v1, s[2:3]
	s_or_b64 s[62:63], vcc, s[62:63]
	global_store_short v[0:1], v4, off
	s_andn2_b64 exec, exec, s[62:63]
	s_cbranch_execz .LBB27_62
.LBB27_4:                               ; =>This Loop Header: Depth=1
                                        ;     Child Loop BB27_7 Depth 2
	buffer_load_dword v1, off, s[96:99], 0 offset:256 ; 4-byte Folded Reload
	v_sub_u32_e32 v0, 0, v9
	v_max_i32_e32 v0, v9, v0
	v_ashrrev_i32_e32 v3, 31, v9
	v_readlane_b32 s0, v63, 9
	v_xor_b32_e32 v3, s0, v3
	v_readlane_b32 s0, v63, 10
	s_waitcnt vmcnt(0)
	v_mul_hi_u32 v1, v0, v1
	v_mul_lo_u32 v2, v1, s36
	v_add_u32_e32 v4, 1, v1
	v_sub_u32_e32 v0, v0, v2
	v_cmp_le_u32_e32 vcc, s36, v0
	v_subrev_u32_e32 v2, s36, v0
	v_cndmask_b32_e32 v1, v1, v4, vcc
	v_cndmask_b32_e32 v0, v0, v2, vcc
	v_add_u32_e32 v2, 1, v1
	v_cmp_le_u32_e32 vcc, s36, v0
	v_cndmask_b32_e32 v0, v1, v2, vcc
	buffer_load_dword v2, off, s[96:99], 0 offset:260 ; 4-byte Folded Reload
	v_xor_b32_e32 v0, v0, v3
	v_sub_u32_e32 v0, v0, v3
	v_sub_u32_e32 v1, 0, v0
	v_max_i32_e32 v1, v0, v1
	v_ashrrev_i32_e32 v4, 31, v0
	v_xor_b32_e32 v4, s0, v4
	v_readlane_b32 s0, v63, 4
	s_waitcnt vmcnt(0)
	v_mul_hi_u32 v2, v1, v2
	v_mul_lo_u32 v3, v2, s47
	v_add_u32_e32 v5, 1, v2
	v_sub_u32_e32 v1, v1, v3
	v_cmp_le_u32_e32 vcc, s47, v1
	v_subrev_u32_e32 v3, s47, v1
	v_cndmask_b32_e32 v2, v2, v5, vcc
	v_cndmask_b32_e32 v1, v1, v3, vcc
	v_add_u32_e32 v3, 1, v2
	v_cmp_le_u32_e32 vcc, s47, v1
	v_cndmask_b32_e32 v1, v2, v3, vcc
	buffer_load_dword v3, off, s[96:99], 0 offset:264 ; 4-byte Folded Reload
	v_xor_b32_e32 v1, v1, v4
	v_sub_u32_e32 v1, v1, v4
	v_sub_u32_e32 v2, 0, v1
	v_max_i32_e32 v2, v1, v2
	v_ashrrev_i32_e32 v6, 31, v1
	v_xor_b32_e32 v6, s61, v6
	v_mul_lo_u32 v4, v0, s34
	v_sub_u32_e32 v11, v9, v4
	v_mul_lo_u32 v4, v1, s39
	s_waitcnt vmcnt(0)
	v_mul_hi_u32 v3, v2, v3
	v_mul_lo_u32 v5, v3, s60
	v_add_u32_e32 v7, 1, v3
	v_sub_u32_e32 v2, v2, v5
	v_cmp_le_u32_e32 vcc, s60, v2
	v_subrev_u32_e32 v5, s60, v2
	v_cndmask_b32_e32 v3, v3, v7, vcc
	v_cndmask_b32_e32 v2, v2, v5, vcc
	v_add_u32_e32 v5, 1, v3
	v_cmp_le_u32_e32 vcc, s60, v2
	v_cndmask_b32_e32 v2, v3, v5, vcc
	buffer_load_dword v5, off, s[96:99], 0 offset:268 ; 4-byte Folded Reload
	v_xor_b32_e32 v2, v2, v6
	v_sub_u32_e32 v2, v2, v6
	v_sub_u32_e32 v3, 0, v2
	v_max_i32_e32 v3, v2, v3
	v_ashrrev_i32_e32 v8, 31, v2
	v_xor_b32_e32 v8, s0, v8
	v_mul_lo_u32 v7, v2, s38
	v_readlane_b32 s0, v63, 11
	v_readlane_b32 s1, v63, 12
	v_sub_u32_e32 v7, v1, v7
	s_waitcnt vmcnt(0)
	v_mul_hi_u32 v5, v3, v5
	v_mul_lo_u32 v6, v5, s33
	v_sub_u32_e32 v3, v3, v6
	v_add_u32_e32 v6, 1, v5
	v_cmp_le_u32_e32 vcc, s33, v3
	v_cndmask_b32_e32 v5, v5, v6, vcc
	v_subrev_u32_e32 v6, s33, v3
	v_cndmask_b32_e32 v3, v3, v6, vcc
	v_add_u32_e32 v6, 1, v5
	v_cmp_le_u32_e32 vcc, s33, v3
	v_cndmask_b32_e32 v3, v5, v6, vcc
	v_xor_b32_e32 v3, v3, v8
	v_sub_u32_e32 v23, v3, v8
	v_mul_lo_u32 v3, v23, s37
	v_sub_u32_e32 v8, v0, v4
	s_and_b64 vcc, exec, s[0:1]
	v_sub_u32_e32 v57, v2, v3
	s_cbranch_vccnz .LBB27_61
; %bb.5:                                ;   in Loop: Header=BB27_4 Depth=1
	v_add_u32_e32 v5, s45, v8
	v_add_u32_e32 v0, s46, v11
	buffer_store_dword v9, off, s[96:99], 0 offset:228 ; 4-byte Folded Spill
	s_nop 0
	buffer_store_dword v10, off, s[96:99], 0 offset:232 ; 4-byte Folded Spill
	buffer_store_dword v7, off, s[96:99], 0 offset:244 ; 4-byte Folded Spill
	v_add_u32_e32 v6, s44, v7
	buffer_store_dword v11, off, s[96:99], 0 offset:236 ; 4-byte Folded Spill
	v_or_b32_e32 v11, v0, v5
	v_or_b32_e32 v1, v11, v6
	v_cmp_lt_i32_e32 vcc, -1, v1
	v_add_u32_e32 v1, -1, v0
	v_or_b32_e32 v13, v1, v5
	v_add_u32_e32 v14, -2, v0
	v_add_u32_e32 v9, -1, v5
	v_or_b32_e32 v2, v13, v6
	v_or_b32_e32 v16, v14, v5
	v_or_b32_e32 v10, v0, v9
	v_cmp_lt_i32_e64 s[2:3], -1, v2
	v_or_b32_e32 v2, v16, v6
	v_or_b32_e32 v12, v1, v9
	v_cmp_lt_i32_e64 s[4:5], -1, v2
	v_or_b32_e32 v2, v10, v6
	v_add_u32_e32 v7, -2, v5
	v_or_b32_e32 v15, v14, v9
	v_cmp_lt_i32_e64 s[6:7], -1, v2
	v_or_b32_e32 v2, v12, v6
	v_cmp_gt_i32_e64 s[24:25], s42, v5
	v_cmp_gt_i32_e64 s[26:27], s43, v0
	v_cmp_gt_i32_e64 s[28:29], s43, v1
	v_cmp_gt_i32_e64 s[30:31], s43, v14
	buffer_store_dword v8, off, s[96:99], 0 offset:240 ; 4-byte Folded Spill
	v_or_b32_e32 v8, v0, v7
	v_cmp_lt_i32_e64 s[8:9], -1, v2
	v_or_b32_e32 v2, v15, v6
	s_and_b64 s[86:87], s[26:27], s[24:25]
	s_and_b64 s[84:85], s[28:29], s[24:25]
	;; [unrolled: 1-line block ×3, first 2 shown]
	v_cmp_gt_i32_e64 s[24:25], s42, v9
	v_cmp_lt_i32_e64 s[10:11], -1, v2
	v_or_b32_e32 v2, v8, v6
	v_or_b32_e32 v17, v1, v7
	s_and_b64 s[52:53], s[26:27], s[24:25]
	s_and_b64 s[0:1], s[28:29], s[24:25]
	;; [unrolled: 1-line block ×3, first 2 shown]
	v_cmp_gt_i32_e64 s[24:25], s42, v7
	v_cmp_lt_i32_e64 s[12:13], -1, v2
	v_or_b32_e32 v2, v17, v6
	v_or_b32_e32 v18, v14, v7
	s_and_b64 s[92:93], s[26:27], s[24:25]
	s_and_b64 s[90:91], s[28:29], s[24:25]
	;; [unrolled: 1-line block ×3, first 2 shown]
	v_cmp_gt_i32_e64 s[24:25], s41, v6
	s_and_b64 s[2:3], s[84:85], s[2:3]
	v_cmp_lt_i32_e64 s[14:15], -1, v2
	v_or_b32_e32 v2, v18, v6
	s_and_b64 s[28:29], s[2:3], s[24:25]
	s_and_b64 s[2:3], s[54:55], s[4:5]
	v_cmp_lt_i32_e64 s[16:17], -1, v2
	v_add_u32_e32 v2, -1, v6
	s_and_b64 s[30:31], s[2:3], s[24:25]
	s_and_b64 s[2:3], s[52:53], s[6:7]
	v_or_b32_e32 v3, v11, v2
	s_and_b64 s[64:65], s[2:3], s[24:25]
	s_and_b64 s[2:3], s[0:1], s[8:9]
	v_cmp_lt_i32_e64 s[18:19], -1, v3
	v_or_b32_e32 v3, v13, v2
	s_and_b64 s[66:67], s[2:3], s[24:25]
	s_and_b64 s[2:3], s[94:95], s[10:11]
	v_cmp_lt_i32_e64 s[20:21], -1, v3
	;; [unrolled: 4-line block ×3, first 2 shown]
	s_and_b64 s[70:71], s[2:3], s[24:25]
	s_and_b64 s[2:3], s[90:91], s[14:15]
	v_or_b32_e32 v3, v10, v2
	v_cmp_gt_i32_e64 s[4:5], s41, v2
	s_and_b64 s[6:7], s[86:87], s[18:19]
	s_and_b64 s[26:27], s[86:87], vcc
	s_and_b64 s[72:73], s[2:3], s[24:25]
	s_and_b64 s[2:3], s[88:89], s[16:17]
	v_cmp_lt_i32_e32 vcc, -1, v3
	v_or_b32_e32 v3, v12, v2
	s_and_b64 s[18:19], s[6:7], s[4:5]
	s_and_b64 s[6:7], s[84:85], s[20:21]
	;; [unrolled: 1-line block ×3, first 2 shown]
	v_or_b32_e32 v4, v15, v2
	v_cmp_lt_i32_e64 s[2:3], -1, v3
	s_and_b64 s[20:21], s[6:7], s[4:5]
	s_and_b64 s[6:7], s[54:55], s[22:23]
	v_or_b32_e32 v3, v8, v2
	s_and_b64 s[22:23], s[6:7], s[4:5]
	s_and_b64 s[6:7], s[52:53], vcc
	s_and_b64 s[2:3], s[0:1], s[2:3]
	v_cmp_lt_i32_e32 vcc, -1, v4
	v_or_b32_e32 v19, v17, v2
	s_and_b64 s[74:75], s[2:3], s[4:5]
	s_and_b64 s[2:3], s[94:95], vcc
	v_cmp_lt_i32_e32 vcc, -1, v3
	v_mul_lo_u32 v21, v6, s42
	v_or_b32_e32 v2, v18, v2
	s_and_b64 s[76:77], s[2:3], s[4:5]
	s_and_b64 s[2:3], s[92:93], vcc
	v_cmp_lt_i32_e32 vcc, -1, v19
	v_mul_lo_u32 v60, v57, s40
	s_and_b64 s[78:79], s[2:3], s[4:5]
	s_and_b64 s[2:3], s[90:91], vcc
	v_cmp_lt_i32_e32 vcc, -1, v2
	s_and_b64 s[80:81], s[2:3], s[4:5]
	s_and_b64 s[2:3], s[88:89], vcc
	s_and_b64 s[82:83], s[2:3], s[4:5]
	v_add_u32_e32 v2, v5, v21
	v_readlane_b32 s2, v63, 5
	v_mul_lo_u32 v22, v2, s43
	v_mul_lo_u32 v2, s2, v60
	s_waitcnt lgkmcnt(0)
	v_mul_lo_u32 v19, s56, v23
	s_and_b64 s[26:27], s[26:27], s[24:25]
	s_and_b64 s[24:25], s[6:7], s[4:5]
	v_ashrrev_i32_e32 v3, 31, v2
	v_readlane_b32 s4, v63, 6
	v_lshlrev_b64 v[2:3], 1, v[2:3]
	v_readlane_b32 s5, v63, 7
	v_mov_b32_e32 v20, s5
	v_add_co_u32_e32 v2, vcc, s4, v2
	v_addc_co_u32_e32 v3, vcc, v20, v3, vcc
	v_ashrrev_i32_e32 v20, 31, v19
	v_readlane_b32 s2, v63, 2
	v_lshlrev_b64 v[19:20], 1, v[19:20]
	v_readlane_b32 s3, v63, 3
	buffer_store_dword v23, off, s[96:99], 0 offset:252 ; 4-byte Folded Spill
	v_mov_b32_e32 v23, s3
	v_add_co_u32_e32 v61, vcc, s2, v19
	v_addc_co_u32_e32 v19, vcc, v23, v20, vcc
	v_add_u32_e32 v23, -2, v6
	v_or_b32_e32 v25, v11, v23
	v_add_u32_e32 v24, v9, v21
	buffer_store_dword v19, off, s[96:99], 0 offset:4 ; 4-byte Folded Spill
	v_or_b32_e32 v19, v15, v23
	v_or_b32_e32 v11, v8, v23
	v_add_u32_e32 v8, v7, v21
	v_cmp_lt_i32_e64 s[10:11], -1, v25
	v_subrev_u32_e32 v21, s42, v21
	v_add_u32_e32 v4, v0, v22
	v_or_b32_e32 v26, v13, v23
	v_or_b32_e32 v27, v16, v23
	v_mul_lo_u32 v13, v24, s43
	v_or_b32_e32 v24, v10, v23
	s_and_b64 s[14:15], s[86:87], s[10:11]
	v_cmp_lt_i32_e64 s[10:11], -1, v19
	v_subrev_u32_e32 v19, s42, v21
	v_or_b32_e32 v20, v17, v23
	v_mul_lo_u32 v17, v8, s43
	v_add_u32_e32 v8, v5, v21
	v_cmp_lt_i32_e64 s[2:3], -1, v27
	v_cmp_lt_i32_e64 s[4:5], -1, v24
	v_add_u32_e32 v24, v9, v21
	v_add_u32_e32 v27, v7, v21
	v_add_u32_e32 v21, v5, v19
	v_ashrrev_i32_e32 v5, 31, v4
	v_lshlrev_b64 v[4:5], 1, v[4:5]
	v_add_u32_e32 v6, v1, v22
	v_add_u32_e32 v52, v7, v19
	v_ashrrev_i32_e32 v7, 31, v6
	buffer_store_dword v4, off, s[96:99], 0 offset:12 ; 4-byte Folded Spill
	s_nop 0
	buffer_store_dword v5, off, s[96:99], 0 offset:16 ; 4-byte Folded Spill
	v_lshlrev_b64 v[4:5], 1, v[6:7]
	v_or_b32_e32 v28, v12, v23
	v_or_b32_e32 v15, v18, v23
	v_cmp_gt_i32_e32 vcc, s41, v23
	v_mul_lo_u32 v23, v8, s43
	v_add_u32_e32 v8, v14, v22
	v_add_u32_e32 v46, v9, v19
	v_ashrrev_i32_e32 v9, 31, v8
	buffer_store_dword v4, off, s[96:99], 0 offset:20 ; 4-byte Folded Spill
	s_nop 0
	buffer_store_dword v5, off, s[96:99], 0 offset:24 ; 4-byte Folded Spill
	v_lshlrev_b64 v[4:5], 1, v[8:9]
	v_add_u32_e32 v10, v0, v13
	v_cmp_lt_i32_e64 s[8:9], -1, v26
	s_and_b64 s[86:87], s[84:85], s[8:9]
	v_cmp_lt_i32_e64 s[8:9], -1, v11
	v_ashrrev_i32_e32 v11, 31, v10
	buffer_store_dword v4, off, s[96:99], 0 offset:28 ; 4-byte Folded Spill
	s_nop 0
	buffer_store_dword v5, off, s[96:99], 0 offset:32 ; 4-byte Folded Spill
	v_lshlrev_b64 v[4:5], 1, v[10:11]
	v_add_u32_e32 v12, v1, v13
	v_add_u32_e32 v26, v14, v13
	v_ashrrev_i32_e32 v13, 31, v12
	buffer_store_dword v4, off, s[96:99], 0 offset:36 ; 4-byte Folded Spill
	s_nop 0
	buffer_store_dword v5, off, s[96:99], 0 offset:40 ; 4-byte Folded Spill
	v_lshlrev_b64 v[4:5], 1, v[12:13]
	v_mul_lo_u32 v42, v27, s43
	v_ashrrev_i32_e32 v27, 31, v26
	buffer_store_dword v4, off, s[96:99], 0 offset:44 ; 4-byte Folded Spill
	s_nop 0
	buffer_store_dword v5, off, s[96:99], 0 offset:48 ; 4-byte Folded Spill
	v_lshlrev_b64 v[4:5], 1, v[26:27]
	v_add_u32_e32 v16, v0, v17
	v_add_u32_e32 v18, v1, v17
	;; [unrolled: 1-line block ×3, first 2 shown]
	v_ashrrev_i32_e32 v17, 31, v16
	buffer_store_dword v4, off, s[96:99], 0 offset:52 ; 4-byte Folded Spill
	s_nop 0
	buffer_store_dword v5, off, s[96:99], 0 offset:56 ; 4-byte Folded Spill
	v_lshlrev_b64 v[4:5], 1, v[16:17]
	v_ashrrev_i32_e32 v19, 31, v18
	buffer_store_dword v4, off, s[96:99], 0 offset:60 ; 4-byte Folded Spill
	s_nop 0
	buffer_store_dword v5, off, s[96:99], 0 offset:64 ; 4-byte Folded Spill
	v_lshlrev_b64 v[4:5], 1, v[18:19]
	;; [unrolled: 5-line block ×3, first 2 shown]
	v_add_u32_e32 v22, v0, v23
	v_mul_lo_u32 v25, v24, s43
	v_add_u32_e32 v24, v1, v23
	v_add_u32_e32 v34, v14, v23
	v_ashrrev_i32_e32 v23, 31, v22
	buffer_store_dword v4, off, s[96:99], 0 offset:76 ; 4-byte Folded Spill
	s_nop 0
	buffer_store_dword v5, off, s[96:99], 0 offset:80 ; 4-byte Folded Spill
	v_lshlrev_b64 v[4:5], 1, v[22:23]
	v_cmp_lt_i32_e64 s[6:7], -1, v28
	v_add_u32_e32 v28, v0, v25
	v_add_u32_e32 v32, v1, v25
	;; [unrolled: 1-line block ×3, first 2 shown]
	v_ashrrev_i32_e32 v25, 31, v24
	buffer_store_dword v4, off, s[96:99], 0 offset:84 ; 4-byte Folded Spill
	s_nop 0
	buffer_store_dword v5, off, s[96:99], 0 offset:88 ; 4-byte Folded Spill
	v_lshlrev_b64 v[4:5], 1, v[24:25]
	v_ashrrev_i32_e32 v35, 31, v34
	buffer_store_dword v4, off, s[96:99], 0 offset:92 ; 4-byte Folded Spill
	s_nop 0
	buffer_store_dword v5, off, s[96:99], 0 offset:96 ; 4-byte Folded Spill
	v_lshlrev_b64 v[4:5], 1, v[34:35]
	;; [unrolled: 5-line block ×5, first 2 shown]
	v_add_u32_e32 v36, v0, v42
	v_ashrrev_i32_e32 v37, 31, v36
	buffer_store_dword v4, off, s[96:99], 0 offset:124 ; 4-byte Folded Spill
	s_nop 0
	buffer_store_dword v5, off, s[96:99], 0 offset:128 ; 4-byte Folded Spill
	v_lshlrev_b64 v[4:5], 1, v[36:37]
	v_add_u32_e32 v40, v1, v42
	v_ashrrev_i32_e32 v41, 31, v40
	buffer_store_dword v4, off, s[96:99], 0 offset:132 ; 4-byte Folded Spill
	s_nop 0
	buffer_store_dword v5, off, s[96:99], 0 offset:136 ; 4-byte Folded Spill
	v_mul_lo_u32 v47, v21, s43
	v_lshlrev_b64 v[4:5], 1, v[40:41]
	v_cmp_lt_i32_e64 s[12:13], -1, v20
	v_add_u32_e32 v20, v14, v42
	v_ashrrev_i32_e32 v21, 31, v20
	buffer_store_dword v4, off, s[96:99], 0 offset:140 ; 4-byte Folded Spill
	s_nop 0
	buffer_store_dword v5, off, s[96:99], 0 offset:144 ; 4-byte Folded Spill
	v_lshlrev_b64 v[4:5], 1, v[20:21]
	v_add_u32_e32 v42, v0, v47
	v_ashrrev_i32_e32 v43, 31, v42
	buffer_store_dword v4, off, s[96:99], 0 offset:148 ; 4-byte Folded Spill
	s_nop 0
	buffer_store_dword v5, off, s[96:99], 0 offset:152 ; 4-byte Folded Spill
	v_lshlrev_b64 v[4:5], 1, v[42:43]
	v_add_u32_e32 v44, v1, v47
	v_ashrrev_i32_e32 v45, 31, v44
	buffer_store_dword v4, off, s[96:99], 0 offset:156 ; 4-byte Folded Spill
	s_nop 0
	buffer_store_dword v5, off, s[96:99], 0 offset:160 ; 4-byte Folded Spill
	s_and_b64 s[84:85], s[14:15], vcc
	v_cmp_lt_i32_e64 s[14:15], -1, v15
	v_mul_lo_u32 v15, v46, s43
	v_lshlrev_b64 v[4:5], 1, v[44:45]
	v_add_u32_e32 v46, v14, v47
	v_ashrrev_i32_e32 v47, 31, v46
	buffer_store_dword v4, off, s[96:99], 0 offset:164 ; 4-byte Folded Spill
	s_nop 0
	buffer_store_dword v5, off, s[96:99], 0 offset:168 ; 4-byte Folded Spill
	v_lshlrev_b64 v[4:5], 1, v[46:47]
	v_add_u32_e32 v48, v0, v15
	v_ashrrev_i32_e32 v49, 31, v48
	buffer_store_dword v4, off, s[96:99], 0 offset:172 ; 4-byte Folded Spill
	s_nop 0
	buffer_store_dword v5, off, s[96:99], 0 offset:176 ; 4-byte Folded Spill
	;; [unrolled: 6-line block ×3, first 2 shown]
	v_mul_lo_u32 v56, v52, s43
	v_lshlrev_b64 v[4:5], 1, v[50:51]
	v_add_u32_e32 v52, v14, v15
	v_ashrrev_i32_e32 v53, 31, v52
	buffer_store_dword v4, off, s[96:99], 0 offset:188 ; 4-byte Folded Spill
	s_nop 0
	buffer_store_dword v5, off, s[96:99], 0 offset:192 ; 4-byte Folded Spill
	v_lshlrev_b64 v[4:5], 1, v[52:53]
	s_and_b64 s[0:1], s[0:1], s[6:7]
	v_add_u32_e32 v54, v0, v56
	v_add_u32_e32 v0, v1, v56
	s_and_b64 s[6:7], s[0:1], vcc
	s_and_b64 s[0:1], s[94:95], s[10:11]
	v_ashrrev_i32_e32 v55, 31, v54
	v_ashrrev_i32_e32 v1, 31, v0
	buffer_store_dword v4, off, s[96:99], 0 offset:196 ; 4-byte Folded Spill
	s_nop 0
	buffer_store_dword v5, off, s[96:99], 0 offset:200 ; 4-byte Folded Spill
	s_and_b64 s[10:11], s[0:1], vcc
	s_and_b64 s[0:1], s[92:93], s[8:9]
	v_lshlrev_b64 v[4:5], 1, v[54:55]
	v_lshlrev_b64 v[0:1], 1, v[0:1]
	s_and_b64 s[8:9], s[0:1], vcc
	s_and_b64 s[0:1], s[90:91], s[12:13]
	v_add_u32_e32 v14, v14, v56
	s_and_b64 s[12:13], s[0:1], vcc
	s_and_b64 s[0:1], s[88:89], s[14:15]
	v_ashrrev_i32_e32 v15, 31, v14
	buffer_store_dword v4, off, s[96:99], 0 offset:204 ; 4-byte Folded Spill
	s_nop 0
	buffer_store_dword v5, off, s[96:99], 0 offset:208 ; 4-byte Folded Spill
	buffer_store_dword v0, off, s[96:99], 0 offset:212 ; 4-byte Folded Spill
	s_nop 0
	buffer_store_dword v1, off, s[96:99], 0 offset:216 ; 4-byte Folded Spill
	s_and_b64 s[14:15], s[0:1], vcc
	v_lshlrev_b64 v[0:1], 1, v[14:15]
	s_mul_i32 s0, s57, s40
	v_mul_lo_u32 v58, s0, v57
	buffer_store_dword v0, off, s[96:99], 0 offset:220 ; 4-byte Folded Spill
	s_nop 0
	buffer_store_dword v1, off, s[96:99], 0 offset:224 ; 4-byte Folded Spill
	s_and_b64 s[2:3], s[54:55], s[2:3]
	s_and_b64 s[4:5], s[52:53], s[4:5]
	v_add_u32_e32 v0, s40, v60
	s_and_b64 s[86:87], s[86:87], vcc
	s_and_b64 s[2:3], s[2:3], vcc
	;; [unrolled: 1-line block ×3, first 2 shown]
	s_mov_b64 s[88:89], 0
	buffer_store_dword v0, off, s[96:99], 0 offset:8 ; 4-byte Folded Spill
	v_mov_b32_e32 v0, 0
	buffer_store_dword v57, off, s[96:99], 0 offset:248 ; 4-byte Folded Spill
	s_branch .LBB27_7
.LBB27_6:                               ;   in Loop: Header=BB27_7 Depth=2
	s_or_b64 exec, exec, s[0:1]
	buffer_load_dword v4, off, s[96:99], 0  ; 4-byte Folded Reload
	v_add_co_u32_e32 v2, vcc, 54, v2
	v_addc_co_u32_e32 v3, vcc, 0, v3, vcc
	v_add_u32_e32 v60, 1, v60
	v_add_u32_e32 v58, s57, v58
	s_waitcnt vmcnt(0)
	v_lshlrev_b32_e32 v4, 16, v4
	v_fmac_f32_e32 v0, v59, v4
	v_lshlrev_b32_e32 v4, 16, v5
	v_fmac_f32_e32 v0, v7, v4
	v_lshlrev_b32_e32 v4, 16, v1
	buffer_load_dword v1, off, s[96:99], 0 offset:8 ; 4-byte Folded Reload
	v_fmac_f32_e32 v0, v6, v4
	v_lshlrev_b32_e32 v4, 16, v57
	v_fmac_f32_e32 v0, v11, v4
	v_lshlrev_b32_e32 v4, 16, v12
	;; [unrolled: 2-line block ×24, first 2 shown]
	v_fmac_f32_e32 v0, v54, v4
	s_waitcnt vmcnt(0)
	v_cmp_ge_i32_e32 vcc, v60, v1
	s_or_b64 s[88:89], vcc, s[88:89]
	s_andn2_b64 exec, exec, s[88:89]
	s_cbranch_execz .LBB27_2
.LBB27_7:                               ;   Parent Loop BB27_4 Depth=1
                                        ; =>  This Inner Loop Header: Depth=2
	v_ashrrev_i32_e32 v59, 31, v58
	v_lshlrev_b64 v[4:5], 1, v[58:59]
	global_load_ushort v1, v[2:3], off
	v_add_co_u32_e32 v62, vcc, v61, v4
	buffer_load_dword v4, off, s[96:99], 0 offset:4 ; 4-byte Folded Reload
	v_mov_b32_e32 v59, 0
	s_waitcnt vmcnt(1)
	buffer_store_dword v1, off, s[96:99], 0 ; 4-byte Folded Spill
	s_waitcnt vmcnt(1)
	v_addc_co_u32_e32 v4, vcc, v4, v5, vcc
	s_and_saveexec_b64 s[0:1], s[26:27]
	s_cbranch_execz .LBB27_9
; %bb.8:                                ;   in Loop: Header=BB27_7 Depth=2
	buffer_load_dword v5, off, s[96:99], 0 offset:12 ; 4-byte Folded Reload
	buffer_load_dword v6, off, s[96:99], 0 offset:16 ; 4-byte Folded Reload
	s_waitcnt vmcnt(1)
	v_add_co_u32_e32 v5, vcc, v62, v5
	s_waitcnt vmcnt(0)
	v_addc_co_u32_e32 v6, vcc, v4, v6, vcc
	global_load_ushort v5, v[5:6], off
	s_waitcnt vmcnt(0)
	v_lshlrev_b32_e32 v59, 16, v5
.LBB27_9:                               ;   in Loop: Header=BB27_7 Depth=2
	s_or_b64 exec, exec, s[0:1]
	global_load_ushort v5, v[2:3], off offset:2
	v_mov_b32_e32 v6, 0
	v_mov_b32_e32 v7, 0
	s_and_saveexec_b64 s[0:1], s[28:29]
	s_cbranch_execz .LBB27_11
; %bb.10:                               ;   in Loop: Header=BB27_7 Depth=2
	buffer_load_dword v7, off, s[96:99], 0 offset:20 ; 4-byte Folded Reload
	buffer_load_dword v8, off, s[96:99], 0 offset:24 ; 4-byte Folded Reload
	s_waitcnt vmcnt(1)
	v_add_co_u32_e32 v7, vcc, v62, v7
	s_waitcnt vmcnt(0)
	v_addc_co_u32_e32 v8, vcc, v4, v8, vcc
	global_load_ushort v7, v[7:8], off
	s_waitcnt vmcnt(0)
	v_lshlrev_b32_e32 v7, 16, v7
.LBB27_11:                              ;   in Loop: Header=BB27_7 Depth=2
	s_or_b64 exec, exec, s[0:1]
	global_load_ushort v1, v[2:3], off offset:4
	s_and_saveexec_b64 s[0:1], s[30:31]
	s_cbranch_execz .LBB27_13
; %bb.12:                               ;   in Loop: Header=BB27_7 Depth=2
	buffer_load_dword v9, off, s[96:99], 0 offset:28 ; 4-byte Folded Reload
	buffer_load_dword v10, off, s[96:99], 0 offset:32 ; 4-byte Folded Reload
	s_waitcnt vmcnt(1)
	v_add_co_u32_e32 v9, vcc, v62, v9
	s_waitcnt vmcnt(0)
	v_addc_co_u32_e32 v10, vcc, v4, v10, vcc
	global_load_ushort v6, v[9:10], off
	s_waitcnt vmcnt(0)
	v_lshlrev_b32_e32 v6, 16, v6
.LBB27_13:                              ;   in Loop: Header=BB27_7 Depth=2
	s_or_b64 exec, exec, s[0:1]
	global_load_ushort v57, v[2:3], off offset:6
	v_mov_b32_e32 v10, 0
	v_mov_b32_e32 v11, 0
	s_and_saveexec_b64 s[0:1], s[64:65]
	s_cbranch_execz .LBB27_15
; %bb.14:                               ;   in Loop: Header=BB27_7 Depth=2
	buffer_load_dword v11, off, s[96:99], 0 offset:36 ; 4-byte Folded Reload
	buffer_load_dword v12, off, s[96:99], 0 offset:40 ; 4-byte Folded Reload
	s_waitcnt vmcnt(1)
	v_add_co_u32_e32 v11, vcc, v62, v11
	s_waitcnt vmcnt(0)
	v_addc_co_u32_e32 v12, vcc, v4, v12, vcc
	global_load_ushort v11, v[11:12], off
	s_waitcnt vmcnt(0)
	v_lshlrev_b32_e32 v11, 16, v11
.LBB27_15:                              ;   in Loop: Header=BB27_7 Depth=2
	s_or_b64 exec, exec, s[0:1]
	global_load_ushort v12, v[2:3], off offset:8
	s_and_saveexec_b64 s[0:1], s[66:67]
	s_cbranch_execz .LBB27_17
; %bb.16:                               ;   in Loop: Header=BB27_7 Depth=2
	buffer_load_dword v13, off, s[96:99], 0 offset:44 ; 4-byte Folded Reload
	buffer_load_dword v14, off, s[96:99], 0 offset:48 ; 4-byte Folded Reload
	s_waitcnt vmcnt(1)
	v_add_co_u32_e32 v13, vcc, v62, v13
	s_waitcnt vmcnt(0)
	v_addc_co_u32_e32 v14, vcc, v4, v14, vcc
	global_load_ushort v10, v[13:14], off
	s_waitcnt vmcnt(0)
	v_lshlrev_b32_e32 v10, 16, v10
.LBB27_17:                              ;   in Loop: Header=BB27_7 Depth=2
	;; [unrolled: 32-line block ×12, first 2 shown]
	s_or_b64 exec, exec, s[0:1]
	global_load_ushort v53, v[2:3], off offset:50
	v_mov_b32_e32 v54, 0
	v_mov_b32_e32 v55, 0
	s_and_saveexec_b64 s[0:1], s[12:13]
	s_cbranch_execz .LBB27_59
; %bb.58:                               ;   in Loop: Header=BB27_7 Depth=2
	buffer_load_dword v55, off, s[96:99], 0 offset:212 ; 4-byte Folded Reload
	buffer_load_dword v56, off, s[96:99], 0 offset:216 ; 4-byte Folded Reload
	s_waitcnt vmcnt(1)
	v_add_co_u32_e32 v55, vcc, v62, v55
	s_waitcnt vmcnt(0)
	v_addc_co_u32_e32 v56, vcc, v4, v56, vcc
	global_load_ushort v55, v[55:56], off
	s_waitcnt vmcnt(0)
	v_lshlrev_b32_e32 v55, 16, v55
.LBB27_59:                              ;   in Loop: Header=BB27_7 Depth=2
	s_or_b64 exec, exec, s[0:1]
	global_load_ushort v56, v[2:3], off offset:52
	s_and_saveexec_b64 s[0:1], s[14:15]
	s_cbranch_execz .LBB27_6
; %bb.60:                               ;   in Loop: Header=BB27_7 Depth=2
	buffer_load_dword v8, off, s[96:99], 0 offset:220 ; 4-byte Folded Reload
	buffer_load_dword v9, off, s[96:99], 0 offset:224 ; 4-byte Folded Reload
	v_mov_b32_e32 v54, v61
	s_waitcnt vmcnt(1)
	v_add_co_u32_e32 v61, vcc, v62, v8
	s_waitcnt vmcnt(0)
	v_addc_co_u32_e32 v62, vcc, v4, v9, vcc
	global_load_ushort v4, v[61:62], off
	v_mov_b32_e32 v61, v54
	s_waitcnt vmcnt(0)
	v_lshlrev_b32_e32 v54, 16, v4
	s_branch .LBB27_6
.LBB27_61:                              ;   in Loop: Header=BB27_4 Depth=1
	v_mov_b32_e32 v0, 0
	s_branch .LBB27_3
.LBB27_62:
	s_endpgm
	.section	.rodata,"a",@progbits
	.p2align	6, 0x0
	.amdhsa_kernel _ZN2at6native12_GLOBAL__N_143conv_depthwise3d_cuda_backward_input_kernelIN3c108BFloat16EfLi3ELi3ELi3ELi1ELi1ELi1ELi1ELi1ELi1EEEvN5torch10headeronly6detail27GenericPackedTensorAccessorINS7_14TensorAccessorINS3_8ArrayRefIlEEKT_Lm4ENS6_16DefaultPtrTraitsEiEENS_6detail16IndexBoundsCheckILm5EiEESD_Lm5ESE_iEENS8_INS9_ISB_SC_Lm4ESE_iEESI_SC_Lm5ESE_iEESJ_iiiiiiiii
		.amdhsa_group_segment_fixed_size 0
		.amdhsa_private_segment_fixed_size 276
		.amdhsa_kernarg_size 440
		.amdhsa_user_sgpr_count 6
		.amdhsa_user_sgpr_private_segment_buffer 1
		.amdhsa_user_sgpr_dispatch_ptr 0
		.amdhsa_user_sgpr_queue_ptr 0
		.amdhsa_user_sgpr_kernarg_segment_ptr 1
		.amdhsa_user_sgpr_dispatch_id 0
		.amdhsa_user_sgpr_flat_scratch_init 0
		.amdhsa_user_sgpr_private_segment_size 0
		.amdhsa_uses_dynamic_stack 0
		.amdhsa_system_sgpr_private_segment_wavefront_offset 1
		.amdhsa_system_sgpr_workgroup_id_x 1
		.amdhsa_system_sgpr_workgroup_id_y 0
		.amdhsa_system_sgpr_workgroup_id_z 0
		.amdhsa_system_sgpr_workgroup_info 0
		.amdhsa_system_vgpr_workitem_id 0
		.amdhsa_next_free_vgpr 64
		.amdhsa_next_free_sgpr 100
		.amdhsa_reserve_vcc 1
		.amdhsa_reserve_flat_scratch 0
		.amdhsa_float_round_mode_32 0
		.amdhsa_float_round_mode_16_64 0
		.amdhsa_float_denorm_mode_32 3
		.amdhsa_float_denorm_mode_16_64 3
		.amdhsa_dx10_clamp 1
		.amdhsa_ieee_mode 1
		.amdhsa_fp16_overflow 0
		.amdhsa_exception_fp_ieee_invalid_op 0
		.amdhsa_exception_fp_denorm_src 0
		.amdhsa_exception_fp_ieee_div_zero 0
		.amdhsa_exception_fp_ieee_overflow 0
		.amdhsa_exception_fp_ieee_underflow 0
		.amdhsa_exception_fp_ieee_inexact 0
		.amdhsa_exception_int_div_zero 0
	.end_amdhsa_kernel
	.section	.text._ZN2at6native12_GLOBAL__N_143conv_depthwise3d_cuda_backward_input_kernelIN3c108BFloat16EfLi3ELi3ELi3ELi1ELi1ELi1ELi1ELi1ELi1EEEvN5torch10headeronly6detail27GenericPackedTensorAccessorINS7_14TensorAccessorINS3_8ArrayRefIlEEKT_Lm4ENS6_16DefaultPtrTraitsEiEENS_6detail16IndexBoundsCheckILm5EiEESD_Lm5ESE_iEENS8_INS9_ISB_SC_Lm4ESE_iEESI_SC_Lm5ESE_iEESJ_iiiiiiiii,"axG",@progbits,_ZN2at6native12_GLOBAL__N_143conv_depthwise3d_cuda_backward_input_kernelIN3c108BFloat16EfLi3ELi3ELi3ELi1ELi1ELi1ELi1ELi1ELi1EEEvN5torch10headeronly6detail27GenericPackedTensorAccessorINS7_14TensorAccessorINS3_8ArrayRefIlEEKT_Lm4ENS6_16DefaultPtrTraitsEiEENS_6detail16IndexBoundsCheckILm5EiEESD_Lm5ESE_iEENS8_INS9_ISB_SC_Lm4ESE_iEESI_SC_Lm5ESE_iEESJ_iiiiiiiii,comdat
.Lfunc_end27:
	.size	_ZN2at6native12_GLOBAL__N_143conv_depthwise3d_cuda_backward_input_kernelIN3c108BFloat16EfLi3ELi3ELi3ELi1ELi1ELi1ELi1ELi1ELi1EEEvN5torch10headeronly6detail27GenericPackedTensorAccessorINS7_14TensorAccessorINS3_8ArrayRefIlEEKT_Lm4ENS6_16DefaultPtrTraitsEiEENS_6detail16IndexBoundsCheckILm5EiEESD_Lm5ESE_iEENS8_INS9_ISB_SC_Lm4ESE_iEESI_SC_Lm5ESE_iEESJ_iiiiiiiii, .Lfunc_end27-_ZN2at6native12_GLOBAL__N_143conv_depthwise3d_cuda_backward_input_kernelIN3c108BFloat16EfLi3ELi3ELi3ELi1ELi1ELi1ELi1ELi1ELi1EEEvN5torch10headeronly6detail27GenericPackedTensorAccessorINS7_14TensorAccessorINS3_8ArrayRefIlEEKT_Lm4ENS6_16DefaultPtrTraitsEiEENS_6detail16IndexBoundsCheckILm5EiEESD_Lm5ESE_iEENS8_INS9_ISB_SC_Lm4ESE_iEESI_SC_Lm5ESE_iEESJ_iiiiiiiii
                                        ; -- End function
	.set _ZN2at6native12_GLOBAL__N_143conv_depthwise3d_cuda_backward_input_kernelIN3c108BFloat16EfLi3ELi3ELi3ELi1ELi1ELi1ELi1ELi1ELi1EEEvN5torch10headeronly6detail27GenericPackedTensorAccessorINS7_14TensorAccessorINS3_8ArrayRefIlEEKT_Lm4ENS6_16DefaultPtrTraitsEiEENS_6detail16IndexBoundsCheckILm5EiEESD_Lm5ESE_iEENS8_INS9_ISB_SC_Lm4ESE_iEESI_SC_Lm5ESE_iEESJ_iiiiiiiii.num_vgpr, 64
	.set _ZN2at6native12_GLOBAL__N_143conv_depthwise3d_cuda_backward_input_kernelIN3c108BFloat16EfLi3ELi3ELi3ELi1ELi1ELi1ELi1ELi1ELi1EEEvN5torch10headeronly6detail27GenericPackedTensorAccessorINS7_14TensorAccessorINS3_8ArrayRefIlEEKT_Lm4ENS6_16DefaultPtrTraitsEiEENS_6detail16IndexBoundsCheckILm5EiEESD_Lm5ESE_iEENS8_INS9_ISB_SC_Lm4ESE_iEESI_SC_Lm5ESE_iEESJ_iiiiiiiii.num_agpr, 0
	.set _ZN2at6native12_GLOBAL__N_143conv_depthwise3d_cuda_backward_input_kernelIN3c108BFloat16EfLi3ELi3ELi3ELi1ELi1ELi1ELi1ELi1ELi1EEEvN5torch10headeronly6detail27GenericPackedTensorAccessorINS7_14TensorAccessorINS3_8ArrayRefIlEEKT_Lm4ENS6_16DefaultPtrTraitsEiEENS_6detail16IndexBoundsCheckILm5EiEESD_Lm5ESE_iEENS8_INS9_ISB_SC_Lm4ESE_iEESI_SC_Lm5ESE_iEESJ_iiiiiiiii.numbered_sgpr, 100
	.set _ZN2at6native12_GLOBAL__N_143conv_depthwise3d_cuda_backward_input_kernelIN3c108BFloat16EfLi3ELi3ELi3ELi1ELi1ELi1ELi1ELi1ELi1EEEvN5torch10headeronly6detail27GenericPackedTensorAccessorINS7_14TensorAccessorINS3_8ArrayRefIlEEKT_Lm4ENS6_16DefaultPtrTraitsEiEENS_6detail16IndexBoundsCheckILm5EiEESD_Lm5ESE_iEENS8_INS9_ISB_SC_Lm4ESE_iEESI_SC_Lm5ESE_iEESJ_iiiiiiiii.num_named_barrier, 0
	.set _ZN2at6native12_GLOBAL__N_143conv_depthwise3d_cuda_backward_input_kernelIN3c108BFloat16EfLi3ELi3ELi3ELi1ELi1ELi1ELi1ELi1ELi1EEEvN5torch10headeronly6detail27GenericPackedTensorAccessorINS7_14TensorAccessorINS3_8ArrayRefIlEEKT_Lm4ENS6_16DefaultPtrTraitsEiEENS_6detail16IndexBoundsCheckILm5EiEESD_Lm5ESE_iEENS8_INS9_ISB_SC_Lm4ESE_iEESI_SC_Lm5ESE_iEESJ_iiiiiiiii.private_seg_size, 276
	.set _ZN2at6native12_GLOBAL__N_143conv_depthwise3d_cuda_backward_input_kernelIN3c108BFloat16EfLi3ELi3ELi3ELi1ELi1ELi1ELi1ELi1ELi1EEEvN5torch10headeronly6detail27GenericPackedTensorAccessorINS7_14TensorAccessorINS3_8ArrayRefIlEEKT_Lm4ENS6_16DefaultPtrTraitsEiEENS_6detail16IndexBoundsCheckILm5EiEESD_Lm5ESE_iEENS8_INS9_ISB_SC_Lm4ESE_iEESI_SC_Lm5ESE_iEESJ_iiiiiiiii.uses_vcc, 1
	.set _ZN2at6native12_GLOBAL__N_143conv_depthwise3d_cuda_backward_input_kernelIN3c108BFloat16EfLi3ELi3ELi3ELi1ELi1ELi1ELi1ELi1ELi1EEEvN5torch10headeronly6detail27GenericPackedTensorAccessorINS7_14TensorAccessorINS3_8ArrayRefIlEEKT_Lm4ENS6_16DefaultPtrTraitsEiEENS_6detail16IndexBoundsCheckILm5EiEESD_Lm5ESE_iEENS8_INS9_ISB_SC_Lm4ESE_iEESI_SC_Lm5ESE_iEESJ_iiiiiiiii.uses_flat_scratch, 0
	.set _ZN2at6native12_GLOBAL__N_143conv_depthwise3d_cuda_backward_input_kernelIN3c108BFloat16EfLi3ELi3ELi3ELi1ELi1ELi1ELi1ELi1ELi1EEEvN5torch10headeronly6detail27GenericPackedTensorAccessorINS7_14TensorAccessorINS3_8ArrayRefIlEEKT_Lm4ENS6_16DefaultPtrTraitsEiEENS_6detail16IndexBoundsCheckILm5EiEESD_Lm5ESE_iEENS8_INS9_ISB_SC_Lm4ESE_iEESI_SC_Lm5ESE_iEESJ_iiiiiiiii.has_dyn_sized_stack, 0
	.set _ZN2at6native12_GLOBAL__N_143conv_depthwise3d_cuda_backward_input_kernelIN3c108BFloat16EfLi3ELi3ELi3ELi1ELi1ELi1ELi1ELi1ELi1EEEvN5torch10headeronly6detail27GenericPackedTensorAccessorINS7_14TensorAccessorINS3_8ArrayRefIlEEKT_Lm4ENS6_16DefaultPtrTraitsEiEENS_6detail16IndexBoundsCheckILm5EiEESD_Lm5ESE_iEENS8_INS9_ISB_SC_Lm4ESE_iEESI_SC_Lm5ESE_iEESJ_iiiiiiiii.has_recursion, 0
	.set _ZN2at6native12_GLOBAL__N_143conv_depthwise3d_cuda_backward_input_kernelIN3c108BFloat16EfLi3ELi3ELi3ELi1ELi1ELi1ELi1ELi1ELi1EEEvN5torch10headeronly6detail27GenericPackedTensorAccessorINS7_14TensorAccessorINS3_8ArrayRefIlEEKT_Lm4ENS6_16DefaultPtrTraitsEiEENS_6detail16IndexBoundsCheckILm5EiEESD_Lm5ESE_iEENS8_INS9_ISB_SC_Lm4ESE_iEESI_SC_Lm5ESE_iEESJ_iiiiiiiii.has_indirect_call, 0
	.section	.AMDGPU.csdata,"",@progbits
; Kernel info:
; codeLenInByte = 5704
; TotalNumSgprs: 104
; NumVgprs: 64
; ScratchSize: 276
; MemoryBound: 0
; FloatMode: 240
; IeeeMode: 1
; LDSByteSize: 0 bytes/workgroup (compile time only)
; SGPRBlocks: 12
; VGPRBlocks: 15
; NumSGPRsForWavesPerEU: 104
; NumVGPRsForWavesPerEU: 64
; Occupancy: 4
; WaveLimiterHint : 0
; COMPUTE_PGM_RSRC2:SCRATCH_EN: 1
; COMPUTE_PGM_RSRC2:USER_SGPR: 6
; COMPUTE_PGM_RSRC2:TRAP_HANDLER: 0
; COMPUTE_PGM_RSRC2:TGID_X_EN: 1
; COMPUTE_PGM_RSRC2:TGID_Y_EN: 0
; COMPUTE_PGM_RSRC2:TGID_Z_EN: 0
; COMPUTE_PGM_RSRC2:TIDIG_COMP_CNT: 0
	.section	.text._ZN2at6native12_GLOBAL__N_143conv_depthwise3d_cuda_backward_input_kernelIN3c108BFloat16EfLi3ELi3ELi3ELi1ELi1ELi1ELin1ELin1ELin1EEEvN5torch10headeronly6detail27GenericPackedTensorAccessorINS7_14TensorAccessorINS3_8ArrayRefIlEEKT_Lm4ENS6_16DefaultPtrTraitsEiEENS_6detail16IndexBoundsCheckILm5EiEESD_Lm5ESE_iEENS8_INS9_ISB_SC_Lm4ESE_iEESI_SC_Lm5ESE_iEESJ_iiiiiiiii,"axG",@progbits,_ZN2at6native12_GLOBAL__N_143conv_depthwise3d_cuda_backward_input_kernelIN3c108BFloat16EfLi3ELi3ELi3ELi1ELi1ELi1ELin1ELin1ELin1EEEvN5torch10headeronly6detail27GenericPackedTensorAccessorINS7_14TensorAccessorINS3_8ArrayRefIlEEKT_Lm4ENS6_16DefaultPtrTraitsEiEENS_6detail16IndexBoundsCheckILm5EiEESD_Lm5ESE_iEENS8_INS9_ISB_SC_Lm4ESE_iEESI_SC_Lm5ESE_iEESJ_iiiiiiiii,comdat
	.globl	_ZN2at6native12_GLOBAL__N_143conv_depthwise3d_cuda_backward_input_kernelIN3c108BFloat16EfLi3ELi3ELi3ELi1ELi1ELi1ELin1ELin1ELin1EEEvN5torch10headeronly6detail27GenericPackedTensorAccessorINS7_14TensorAccessorINS3_8ArrayRefIlEEKT_Lm4ENS6_16DefaultPtrTraitsEiEENS_6detail16IndexBoundsCheckILm5EiEESD_Lm5ESE_iEENS8_INS9_ISB_SC_Lm4ESE_iEESI_SC_Lm5ESE_iEESJ_iiiiiiiii ; -- Begin function _ZN2at6native12_GLOBAL__N_143conv_depthwise3d_cuda_backward_input_kernelIN3c108BFloat16EfLi3ELi3ELi3ELi1ELi1ELi1ELin1ELin1ELin1EEEvN5torch10headeronly6detail27GenericPackedTensorAccessorINS7_14TensorAccessorINS3_8ArrayRefIlEEKT_Lm4ENS6_16DefaultPtrTraitsEiEENS_6detail16IndexBoundsCheckILm5EiEESD_Lm5ESE_iEENS8_INS9_ISB_SC_Lm4ESE_iEESI_SC_Lm5ESE_iEESJ_iiiiiiiii
	.p2align	8
	.type	_ZN2at6native12_GLOBAL__N_143conv_depthwise3d_cuda_backward_input_kernelIN3c108BFloat16EfLi3ELi3ELi3ELi1ELi1ELi1ELin1ELin1ELin1EEEvN5torch10headeronly6detail27GenericPackedTensorAccessorINS7_14TensorAccessorINS3_8ArrayRefIlEEKT_Lm4ENS6_16DefaultPtrTraitsEiEENS_6detail16IndexBoundsCheckILm5EiEESD_Lm5ESE_iEENS8_INS9_ISB_SC_Lm4ESE_iEESI_SC_Lm5ESE_iEESJ_iiiiiiiii,@function
_ZN2at6native12_GLOBAL__N_143conv_depthwise3d_cuda_backward_input_kernelIN3c108BFloat16EfLi3ELi3ELi3ELi1ELi1ELi1ELin1ELin1ELin1EEEvN5torch10headeronly6detail27GenericPackedTensorAccessorINS7_14TensorAccessorINS3_8ArrayRefIlEEKT_Lm4ENS6_16DefaultPtrTraitsEiEENS_6detail16IndexBoundsCheckILm5EiEESD_Lm5ESE_iEENS8_INS9_ISB_SC_Lm4ESE_iEESI_SC_Lm5ESE_iEESJ_iiiiiiiii: ; @_ZN2at6native12_GLOBAL__N_143conv_depthwise3d_cuda_backward_input_kernelIN3c108BFloat16EfLi3ELi3ELi3ELi1ELi1ELi1ELin1ELin1ELin1EEEvN5torch10headeronly6detail27GenericPackedTensorAccessorINS7_14TensorAccessorINS3_8ArrayRefIlEEKT_Lm4ENS6_16DefaultPtrTraitsEiEENS_6detail16IndexBoundsCheckILm5EiEESD_Lm5ESE_iEENS8_INS9_ISB_SC_Lm4ESE_iEESI_SC_Lm5ESE_iEESJ_iiiiiiiii
; %bb.0:
	s_load_dwordx4 s[8:11], s[4:5], 0x38
	s_load_dwordx2 s[16:17], s[4:5], 0x48
	s_mov_b64 s[98:99], s[2:3]
	s_mov_b64 s[96:97], s[0:1]
	s_add_u32 s96, s96, s7
	s_addc_u32 s97, s97, 0
	s_waitcnt lgkmcnt(0)
	s_abs_i32 s0, s9
	v_cvt_f32_u32_e32 v2, s0
	s_load_dword s2, s[4:5], 0xc4
                                        ; implicit-def: $vgpr62 : SGPR spill to VGPR lane
	v_mov_b32_e32 v1, 0
	v_writelane_b32 v62, s0, 0
	v_rcp_iflag_f32_e32 v2, v2
	s_add_u32 s0, s4, 0xb8
	v_mov_b32_e32 v3, s6
	s_addc_u32 s1, s5, 0
	s_waitcnt lgkmcnt(0)
	s_and_b32 s2, s2, 0xffff
	v_mad_u64_u32 v[3:4], s[6:7], s2, v3, v[0:1]
	v_mul_f32_e32 v2, 0x4f7ffffe, v2
	v_writelane_b32 v62, s8, 1
	v_cvt_u32_f32_e32 v0, v2
	v_writelane_b32 v62, s9, 2
	v_mov_b32_e32 v2, v3
	v_writelane_b32 v62, s10, 3
	s_mul_i32 s6, s17, s8
	v_mov_b32_e32 v3, v4
	v_writelane_b32 v62, s11, 4
	s_ashr_i32 s7, s6, 31
	v_writelane_b32 v62, s6, 5
	v_cmp_gt_i64_e32 vcc, s[6:7], v[2:3]
	v_writelane_b32 v62, s7, 6
	v_readfirstlane_b32 s3, v0
	s_and_saveexec_b64 s[6:7], vcc
	s_cbranch_execz .LBB28_63
; %bb.1:
	s_load_dwordx4 s[20:23], s[4:5], 0xc
	s_load_dwordx4 s[12:15], s[4:5], 0x38
	s_load_dwordx2 s[8:9], s[4:5], 0x0
	v_readlane_b32 s11, v62, 0
	s_sub_i32 s6, 0, s11
	s_waitcnt lgkmcnt(0)
	s_ashr_i32 s7, s20, 31
	s_ashr_i32 s10, s13, 31
	s_load_dwordx2 s[12:13], s[4:5], 0xa0
	v_writelane_b32 v62, s8, 7
	v_writelane_b32 v62, s9, 8
	;; [unrolled: 1-line block ×3, first 2 shown]
	s_mul_i32 s9, s6, s3
	v_writelane_b32 v62, s21, 10
	s_mul_hi_u32 s9, s3, s9
	v_writelane_b32 v62, s22, 11
	s_abs_i32 s8, s20
	s_add_i32 s3, s3, s9
	v_writelane_b32 v62, s23, 12
	s_mul_hi_u32 s3, s8, s3
	s_waitcnt lgkmcnt(0)
	v_writelane_b32 v62, s12, 13
	s_mul_i32 s9, s3, s11
	v_writelane_b32 v62, s13, 14
	s_sub_i32 s8, s8, s9
	v_writelane_b32 v62, s10, 15
	s_xor_b32 s7, s7, s10
	s_add_i32 s9, s3, 1
	s_sub_i32 s10, s8, s11
	s_cmp_ge_u32 s8, s11
	s_cselect_b32 s3, s9, s3
	s_cselect_b32 s8, s10, s8
	s_add_i32 s9, s3, 1
	s_cmp_ge_u32 s8, s11
	s_cselect_b32 s3, s9, s3
	s_xor_b32 s3, s3, s7
	s_sub_i32 s7, s3, s7
	s_load_dword s3, s[0:1], 0x0
	s_load_dwordx4 s[8:11], s[4:5], 0x90
	s_load_dword s12, s[4:5], 0x7c
	v_writelane_b32 v62, s7, 16
	s_load_dwordx4 s[20:23], s[4:5], 0x50
	s_cmp_gt_i32 s7, 0
	s_cselect_b64 s[0:1], -1, 0
	s_waitcnt lgkmcnt(0)
	v_writelane_b32 v62, s12, 17
	s_load_dwordx2 s[12:13], s[4:5], 0x1c
	s_abs_i32 s7, s16
	v_cvt_f32_u32_e32 v1, s7
	s_mul_i32 s2, s3, s2
	s_abs_i32 s3, s15
	s_waitcnt lgkmcnt(0)
	v_writelane_b32 v62, s12, 18
	v_writelane_b32 v62, s13, 19
	s_load_dwordx2 s[12:13], s[4:5], 0x30
	v_rcp_iflag_f32_e32 v1, v1
	v_mov_b32_e32 v7, v3
	v_mov_b32_e32 v6, v2
	v_cvt_f32_u32_e32 v2, s3
	s_waitcnt lgkmcnt(0)
	v_writelane_b32 v62, s12, 20
	v_writelane_b32 v62, s13, 21
	s_load_dwordx2 s[12:13], s[4:5], 0x60
	v_mul_f32_e32 v1, 0x4f7ffffe, v1
	v_cvt_u32_f32_e32 v1, v1
                                        ; kill: killed $sgpr4 killed $sgpr5
	v_rcp_iflag_f32_e32 v2, v2
	s_abs_i32 s4, s14
	s_waitcnt lgkmcnt(0)
	v_writelane_b32 v62, s12, 22
	v_writelane_b32 v62, s13, 23
	;; [unrolled: 1-line block ×7, first 2 shown]
	s_ashr_i32 s2, s16, 31
	v_writelane_b32 v62, s2, 29
	s_sub_i32 s2, 0, s7
	v_mul_lo_u32 v3, s2, v1
	v_cvt_f32_u32_e32 v4, s4
	v_mul_f32_e32 v2, 0x4f7ffffe, v2
	v_cvt_u32_f32_e32 v2, v2
	v_mul_hi_u32 v3, v1, v3
	v_rcp_iflag_f32_e32 v4, v4
	s_sub_i32 s2, 0, s3
	v_writelane_b32 v62, s7, 30
	v_add_u32_e32 v1, v1, v3
	buffer_store_dword v1, off, s[96:99], 0 offset:256 ; 4-byte Folded Spill
	v_mul_lo_u32 v1, s2, v2
	v_mul_f32_e32 v3, 0x4f7ffffe, v4
	v_cvt_u32_f32_e32 v3, v3
	v_writelane_b32 v62, s3, 31
	s_ashr_i32 s2, s15, 31
	v_writelane_b32 v62, s2, 32
	v_mul_hi_u32 v1, v2, v1
	s_sub_i32 s2, 0, s4
	v_mul_lo_u32 v4, s2, v3
	s_abs_i32 s2, s8
	v_cvt_f32_u32_e32 v5, s2
	v_add_u32_e32 v1, v2, v1
	buffer_store_dword v1, off, s[96:99], 0 offset:260 ; 4-byte Folded Spill
	v_mul_hi_u32 v1, v3, v4
	v_mul_lo_u32 v2, s6, v0
	v_rcp_iflag_f32_e32 v4, v5
	v_writelane_b32 v62, s4, 33
	s_ashr_i32 s3, s14, 31
	v_writelane_b32 v62, s3, 34
	v_add_u32_e32 v1, v3, v1
	s_abs_i32 s3, s9
	buffer_store_dword v1, off, s[96:99], 0 offset:264 ; 4-byte Folded Spill
	v_mul_hi_u32 v1, v0, v2
	v_cvt_f32_u32_e32 v3, s3
	s_abs_i32 s33, s10
	v_mul_f32_e32 v2, 0x4f7ffffe, v4
	v_cvt_f32_u32_e32 v4, s33
	v_rcp_iflag_f32_e32 v3, v3
	v_add_u32_e32 v0, v0, v1
	v_cvt_u32_f32_e32 v2, v2
	buffer_store_dword v0, off, s[96:99], 0 offset:268 ; 4-byte Folded Spill
	v_rcp_iflag_f32_e32 v0, v4
	v_writelane_b32 v62, s2, 35
	s_sub_i32 s2, 0, s2
	v_mul_f32_e32 v3, 0x4f7ffffe, v3
	v_mul_lo_u32 v5, s2, v2
	v_cvt_u32_f32_e32 v3, v3
	v_mul_f32_e32 v0, 0x4f7ffffe, v0
	v_cvt_u32_f32_e32 v0, v0
	s_sub_i32 s2, 0, s3
	v_mul_hi_u32 v1, v2, v5
	v_mul_lo_u32 v4, s2, v3
	s_sub_i32 s2, 0, s33
	v_mul_lo_u32 v5, s2, v0
	v_writelane_b32 v62, s3, 36
	s_ashr_i32 s2, s8, 31
	v_add_u32_e32 v1, v2, v1
	v_writelane_b32 v62, s2, 37
	buffer_store_dword v1, off, s[96:99], 0 offset:272 ; 4-byte Folded Spill
	v_mul_hi_u32 v1, v0, v5
	s_ashr_i32 s2, s9, 31
	v_writelane_b32 v62, s2, 38
	v_writelane_b32 v62, s8, 39
	;; [unrolled: 1-line block ×3, first 2 shown]
	v_mul_hi_u32 v4, v3, v4
	v_writelane_b32 v62, s10, 41
	v_add_u32_e32 v0, v0, v1
	v_writelane_b32 v62, s11, 42
	s_ashr_i32 s2, s10, 31
	buffer_store_dword v0, off, s[96:99], 0 offset:280 ; 4-byte Folded Spill
	v_cndmask_b32_e64 v0, 0, 1, s[0:1]
	v_writelane_b32 v62, s2, 43
	v_cmp_ne_u32_e64 s[0:1], 1, v0
	v_writelane_b32 v62, s0, 44
	v_add_u32_e32 v2, v3, v4
	v_writelane_b32 v62, s1, 45
	buffer_store_dword v2, off, s[96:99], 0 offset:276 ; 4-byte Folded Spill
	v_mov_b32_e32 v2, v6
	v_writelane_b32 v62, s16, 46
	v_mov_b32_e32 v3, v7
	s_mov_b64 s[8:9], 0
	v_writelane_b32 v62, s17, 47
.LBB28_2:                               ; =>This Loop Header: Depth=1
                                        ;     Child Loop BB28_5 Depth 2
	buffer_load_dword v1, off, s[96:99], 0 offset:256 ; 4-byte Folded Reload
	v_sub_u32_e32 v0, 0, v2
	v_max_i32_e32 v0, v2, v0
	v_writelane_b32 v62, s8, 48
	v_writelane_b32 v62, s9, 49
	v_readlane_b32 s0, v62, 30
	v_mov_b32_e32 v9, v3
	v_mov_b32_e32 v8, v2
	v_ashrrev_i32_e32 v3, 31, v8
	v_readlane_b32 s1, v62, 29
	v_xor_b32_e32 v3, s1, v3
	v_readlane_b32 s1, v62, 32
	s_waitcnt vmcnt(0)
	v_mul_hi_u32 v1, v0, v1
	v_mul_lo_u32 v2, v1, s0
	v_add_u32_e32 v4, 1, v1
	v_sub_u32_e32 v0, v0, v2
	v_cmp_le_u32_e32 vcc, s0, v0
	v_subrev_u32_e32 v2, s0, v0
	v_cndmask_b32_e32 v1, v1, v4, vcc
	v_cndmask_b32_e32 v0, v0, v2, vcc
	v_add_u32_e32 v2, 1, v1
	v_cmp_le_u32_e32 vcc, s0, v0
	v_cndmask_b32_e32 v0, v1, v2, vcc
	buffer_load_dword v2, off, s[96:99], 0 offset:260 ; 4-byte Folded Reload
	v_xor_b32_e32 v0, v0, v3
	v_sub_u32_e32 v0, v0, v3
	v_sub_u32_e32 v1, 0, v0
	v_max_i32_e32 v1, v0, v1
	v_readlane_b32 s0, v62, 31
	v_ashrrev_i32_e32 v4, 31, v0
	v_xor_b32_e32 v4, s1, v4
	v_readlane_b32 s1, v62, 34
	s_waitcnt vmcnt(0)
	v_mul_hi_u32 v2, v1, v2
	v_mul_lo_u32 v3, v2, s0
	v_add_u32_e32 v5, 1, v2
	v_sub_u32_e32 v1, v1, v3
	v_cmp_le_u32_e32 vcc, s0, v1
	v_subrev_u32_e32 v3, s0, v1
	v_cndmask_b32_e32 v2, v2, v5, vcc
	v_cndmask_b32_e32 v1, v1, v3, vcc
	v_add_u32_e32 v3, 1, v2
	v_cmp_le_u32_e32 vcc, s0, v1
	v_cndmask_b32_e32 v1, v2, v3, vcc
	buffer_load_dword v3, off, s[96:99], 0 offset:264 ; 4-byte Folded Reload
	v_xor_b32_e32 v1, v1, v4
	v_sub_u32_e32 v1, v1, v4
	v_sub_u32_e32 v2, 0, v1
	v_max_i32_e32 v2, v1, v2
	v_readlane_b32 s0, v62, 33
	v_ashrrev_i32_e32 v6, 31, v1
	v_xor_b32_e32 v6, s1, v6
	v_mul_lo_u32 v4, v0, s16
	s_waitcnt vmcnt(0)
	v_mul_hi_u32 v3, v2, v3
	v_mul_lo_u32 v5, v3, s0
	v_add_u32_e32 v7, 1, v3
	v_sub_u32_e32 v2, v2, v5
	v_cmp_le_u32_e32 vcc, s0, v2
	v_subrev_u32_e32 v5, s0, v2
	v_cndmask_b32_e32 v3, v3, v7, vcc
	v_cndmask_b32_e32 v2, v2, v5, vcc
	v_add_u32_e32 v5, 1, v3
	v_cmp_le_u32_e32 vcc, s0, v2
	v_cndmask_b32_e32 v2, v3, v5, vcc
	buffer_load_dword v5, off, s[96:99], 0 offset:268 ; 4-byte Folded Reload
	s_nop 0
	buffer_store_dword v8, off, s[96:99], 0 offset:228 ; 4-byte Folded Spill
	s_nop 0
	buffer_store_dword v9, off, s[96:99], 0 offset:232 ; 4-byte Folded Spill
	v_xor_b32_e32 v2, v2, v6
	v_sub_u32_e32 v2, v2, v6
	v_sub_u32_e32 v3, 0, v2
	v_max_i32_e32 v3, v2, v3
	v_readlane_b32 s0, v62, 1
	v_readlane_b32 s0, v62, 0
	;; [unrolled: 1-line block ×3, first 2 shown]
	v_mul_lo_u32 v7, v2, s2
	v_readlane_b32 s2, v62, 15
	v_readlane_b32 s1, v62, 2
	v_readlane_b32 s3, v62, 4
	v_sub_u32_e32 v7, v1, v7
	v_sub_u32_e32 v10, v8, v4
	s_waitcnt vmcnt(2)
	v_mul_hi_u32 v5, v3, v5
	v_ashrrev_i32_e32 v8, 31, v2
	v_xor_b32_e32 v8, s2, v8
	v_mul_lo_u32 v4, v1, s3
	v_mul_lo_u32 v6, v5, s0
	v_sub_u32_e32 v3, v3, v6
	v_add_u32_e32 v6, 1, v5
	v_cmp_le_u32_e32 vcc, s0, v3
	v_cndmask_b32_e32 v5, v5, v6, vcc
	v_subrev_u32_e32 v6, s0, v3
	v_cndmask_b32_e32 v3, v3, v6, vcc
	v_add_u32_e32 v6, 1, v5
	v_cmp_le_u32_e32 vcc, s0, v3
	v_cndmask_b32_e32 v3, v5, v6, vcc
	v_xor_b32_e32 v3, v3, v8
	v_sub_u32_e32 v29, v3, v8
	v_mul_lo_u32 v3, v29, s1
	v_readlane_b32 s0, v62, 44
	v_readlane_b32 s1, v62, 45
	v_sub_u32_e32 v8, v0, v4
	s_and_b64 vcc, exec, s[0:1]
	v_sub_u32_e32 v58, v2, v3
	s_cbranch_vccnz .LBB28_60
; %bb.3:                                ;   in Loop: Header=BB28_2 Depth=1
	buffer_load_dword v18, off, s[96:99], 0 offset:272 ; 4-byte Folded Reload
	buffer_load_dword v13, off, s[96:99], 0 offset:276 ; 4-byte Folded Reload
	;; [unrolled: 1-line block ×3, first 2 shown]
	v_readlane_b32 s76, v62, 39
	v_readlane_b32 s79, v62, 42
	buffer_store_dword v7, off, s[96:99], 0 offset:244 ; 4-byte Folded Spill
	v_add_u32_e32 v7, s79, v7
	v_sub_u32_e32 v0, 0, v7
	v_max_i32_e32 v0, v7, v0
	v_readlane_b32 s0, v62, 13
	v_add_u32_e32 v9, s0, v8
	v_readlane_b32 s0, v62, 35
	buffer_store_dword v8, off, s[96:99], 0 offset:240 ; 4-byte Folded Spill
	v_readlane_b32 s1, v62, 14
	v_add_u32_e32 v5, s1, v10
	v_readlane_b32 s1, v62, 36
	v_ashrrev_i32_e32 v3, 31, v7
	v_readlane_b32 s54, v62, 37
	v_xor_b32_e32 v3, s54, v3
	buffer_store_dword v10, off, s[96:99], 0 offset:236 ; 4-byte Folded Spill
	v_readlane_b32 s2, v62, 38
	v_add_u32_e32 v11, -2, v9
	v_add_u32_e32 v12, -1, v9
	v_readlane_b32 s6, v62, 43
	v_add_u32_e32 v14, -2, v7
	v_ashrrev_i32_e32 v15, 31, v12
	v_xor_b32_e32 v15, s2, v15
	v_add_u32_e32 v17, -1, v7
	v_readlane_b32 s84, v62, 9
	v_readlane_b32 s86, v62, 11
	;; [unrolled: 1-line block ×6, first 2 shown]
                                        ; implicit-def: $vgpr63 : SGPR spill to VGPR lane
	buffer_store_dword v29, off, s[96:99], 0 offset:252 ; 4-byte Folded Spill
	v_mov_b32_e32 v61, 0
	s_waitcnt vmcnt(6)
	v_mul_hi_u32 v1, v0, v18
	v_mul_lo_u32 v2, v1, s0
	v_add_u32_e32 v4, 1, v1
	v_sub_u32_e32 v0, v0, v2
	v_cmp_le_u32_e32 vcc, s0, v0
	v_cndmask_b32_e32 v1, v1, v4, vcc
	v_sub_u32_e32 v4, 0, v9
	v_max_i32_e32 v4, v9, v4
	s_waitcnt vmcnt(5)
	v_mul_hi_u32 v8, v4, v13
	v_subrev_u32_e32 v2, s0, v0
	v_cndmask_b32_e32 v0, v0, v2, vcc
	v_add_u32_e32 v2, 1, v1
	v_cmp_le_u32_e32 vcc, s0, v0
	v_cndmask_b32_e32 v0, v1, v2, vcc
	v_mul_lo_u32 v1, v8, s1
	v_add_u32_e32 v2, 1, v8
	v_xor_b32_e32 v0, v0, v3
	v_sub_u32_e32 v6, v0, v3
	v_sub_u32_e32 v1, v4, v1
	v_cmp_le_u32_e32 vcc, s1, v1
	v_sub_u32_e32 v4, 0, v5
	v_cndmask_b32_e32 v2, v8, v2, vcc
	v_max_i32_e32 v8, v5, v4
	s_waitcnt vmcnt(4)
	v_mul_hi_u32 v10, v8, v20
	v_subrev_u32_e32 v3, s1, v1
	v_cndmask_b32_e32 v1, v1, v3, vcc
	v_add_u32_e32 v3, 1, v2
	v_cmp_le_u32_e32 vcc, s1, v1
	v_cndmask_b32_e32 v1, v2, v3, vcc
	v_mul_lo_u32 v2, v10, s33
	v_ashrrev_i32_e32 v0, 31, v9
	v_xor_b32_e32 v0, s2, v0
	v_xor_b32_e32 v1, v1, v0
	v_sub_u32_e32 v4, v1, v0
	v_sub_u32_e32 v1, v8, v2
	v_cmp_le_u32_e32 vcc, s33, v1
	v_subrev_u32_e32 v3, s33, v1
	v_cndmask_b32_e32 v1, v1, v3, vcc
	v_sub_u32_e32 v3, 2, v9
	v_max_i32_e32 v3, v11, v3
	v_mul_hi_u32 v8, v3, v13
	v_add_u32_e32 v2, 1, v10
	v_cndmask_b32_e32 v2, v10, v2, vcc
	v_add_u32_e32 v10, 1, v2
	v_cmp_le_u32_e32 vcc, s33, v1
	v_cndmask_b32_e32 v1, v2, v10, vcc
	v_mul_lo_u32 v2, v8, s1
	v_ashrrev_i32_e32 v0, 31, v5
	v_xor_b32_e32 v0, s6, v0
	v_xor_b32_e32 v1, v1, v0
	v_sub_u32_e32 v2, v3, v2
	v_add_u32_e32 v3, 1, v8
	v_cmp_le_u32_e32 vcc, s1, v2
	v_cndmask_b32_e32 v3, v8, v3, vcc
	v_subrev_u32_e32 v8, s1, v2
	v_cndmask_b32_e32 v2, v2, v8, vcc
	v_sub_u32_e32 v8, 1, v9
	v_max_i32_e32 v10, v12, v8
	v_mul_hi_u32 v13, v10, v13
	v_add_u32_e32 v8, 1, v3
	v_cmp_le_u32_e32 vcc, s1, v2
	v_cndmask_b32_e32 v2, v3, v8, vcc
	v_mul_lo_u32 v3, v13, s1
	v_sub_u32_e32 v1, v1, v0
	v_ashrrev_i32_e32 v0, 31, v11
	v_xor_b32_e32 v0, s2, v0
	v_xor_b32_e32 v2, v2, v0
	v_sub_u32_e32 v8, v2, v0
	v_sub_u32_e32 v0, v10, v3
	v_cmp_le_u32_e32 vcc, s1, v0
	v_subrev_u32_e32 v3, s1, v0
	v_cndmask_b32_e32 v0, v0, v3, vcc
	v_sub_u32_e32 v3, 2, v7
	v_add_u32_e32 v2, 1, v13
	v_max_i32_e32 v3, v14, v3
	v_cndmask_b32_e32 v2, v13, v2, vcc
	v_mul_hi_u32 v13, v3, v18
	v_add_u32_e32 v10, 1, v2
	v_cmp_le_u32_e32 vcc, s1, v0
	v_cndmask_b32_e32 v0, v2, v10, vcc
	v_mul_lo_u32 v16, v13, s0
	v_xor_b32_e32 v0, v0, v15
	v_sub_u32_e32 v10, v0, v15
	v_add_u32_e32 v2, 1, v13
	v_sub_u32_e32 v0, v3, v16
	v_sub_u32_e32 v3, 1, v7
	v_max_i32_e32 v3, v17, v3
	v_mul_hi_u32 v15, v3, v18
	v_cmp_le_u32_e32 vcc, s0, v0
	v_cndmask_b32_e32 v2, v13, v2, vcc
	v_subrev_u32_e32 v13, s0, v0
	v_cndmask_b32_e32 v0, v0, v13, vcc
	v_mul_lo_u32 v13, v15, s0
	v_add_u32_e32 v16, 1, v2
	v_cmp_le_u32_e32 vcc, s0, v0
	v_cndmask_b32_e32 v2, v2, v16, vcc
	v_sub_u32_e32 v0, v3, v13
	v_add_u32_e32 v3, 1, v15
	v_cmp_le_u32_e32 vcc, s0, v0
	v_subrev_u32_e32 v13, s0, v0
	v_cndmask_b32_e32 v3, v15, v3, vcc
	v_cndmask_b32_e32 v0, v0, v13, vcc
	v_add_u32_e32 v13, 1, v3
	v_cmp_le_u32_e32 vcc, s0, v0
	v_cndmask_b32_e32 v0, v3, v13, vcc
	v_add_u32_e32 v18, -1, v5
	v_sub_u32_e32 v13, 1, v5
	v_max_i32_e32 v13, v18, v13
	v_mul_hi_u32 v16, v13, v20
	v_ashrrev_i32_e32 v3, 31, v17
	v_xor_b32_e32 v3, s54, v3
	v_xor_b32_e32 v0, v0, v3
	v_sub_u32_e32 v15, v0, v3
	v_mul_lo_u32 v0, v16, s33
	v_or_b32_e32 v3, v1, v4
	v_or_b32_e32 v19, v3, v6
	v_cmp_lt_i32_e32 vcc, -1, v19
	v_sub_u32_e32 v0, v13, v0
	v_add_u32_e32 v13, 1, v16
	v_cmp_le_u32_e64 s[2:3], s33, v0
	v_cndmask_b32_e64 v13, v16, v13, s[2:3]
	v_subrev_u32_e32 v16, s33, v0
	v_cndmask_b32_e64 v0, v0, v16, s[2:3]
	v_cmp_le_u32_e64 s[2:3], s33, v0
	v_add_u32_e32 v0, -2, v5
	v_sub_u32_e32 v19, 2, v5
	v_max_i32_e32 v19, v0, v19
	v_add_u32_e32 v16, 1, v13
	v_mul_hi_u32 v20, v19, v20
	v_cndmask_b32_e64 v13, v13, v16, s[2:3]
	v_ashrrev_i32_e32 v16, 31, v18
	v_xor_b32_e32 v16, s6, v16
	v_xor_b32_e32 v13, v13, v16
	v_sub_u32_e32 v13, v13, v16
	v_mul_lo_u32 v16, v20, s33
	v_cmp_gt_i32_e64 s[30:31], s86, v4
	v_cmp_gt_i32_e64 s[34:35], s87, v1
	;; [unrolled: 1-line block ×3, first 2 shown]
	v_sub_u32_e32 v16, v19, v16
	v_add_u32_e32 v19, 1, v20
	v_cmp_le_u32_e64 s[4:5], s33, v16
	v_cndmask_b32_e64 v19, v20, v19, s[4:5]
	v_subrev_u32_e32 v20, s33, v16
	v_cndmask_b32_e64 v16, v16, v20, s[4:5]
	v_add_u32_e32 v20, 1, v19
	v_cmp_le_u32_e64 s[4:5], s33, v16
	v_cndmask_b32_e64 v16, v19, v20, s[4:5]
	v_ashrrev_i32_e32 v19, 31, v0
	v_xor_b32_e32 v19, s6, v19
	v_xor_b32_e32 v16, v16, v19
	v_sub_u32_e32 v16, v16, v19
	v_cmp_gt_i32_e64 s[38:39], s87, v16
	s_and_b64 s[52:53], s[34:35], s[30:31]
	s_and_b64 s[50:51], s[36:37], s[30:31]
	;; [unrolled: 1-line block ×3, first 2 shown]
	v_cmp_gt_i32_e64 s[30:31], s86, v10
	v_or_b32_e32 v22, v13, v4
	s_and_b64 s[46:47], s[34:35], s[30:31]
	s_and_b64 s[44:45], s[36:37], s[30:31]
	;; [unrolled: 1-line block ×3, first 2 shown]
	v_cmp_gt_i32_e64 s[30:31], s86, v8
	v_or_b32_e32 v21, v22, v6
	s_and_b64 s[40:41], s[34:35], s[30:31]
	s_and_b64 s[34:35], s[36:37], s[30:31]
	;; [unrolled: 1-line block ×3, first 2 shown]
	v_cmp_gt_i32_e64 s[30:31], s85, v6
	s_and_b64 s[36:37], s[52:53], vcc
	v_cmp_lt_i32_e64 s[2:3], -1, v21
	s_and_b64 s[36:37], s[36:37], s[30:31]
	v_or_b32_e32 v25, v16, v4
	v_writelane_b32 v62, s36, 50
	s_and_b64 s[2:3], s[50:51], s[2:3]
	v_or_b32_e32 v19, v25, v6
	v_writelane_b32 v62, s37, 51
	s_and_b64 s[2:3], s[2:3], s[30:31]
	v_cmp_lt_i32_e64 s[4:5], -1, v19
	v_writelane_b32 v62, s2, 52
	v_or_b32_e32 v23, v1, v10
	v_writelane_b32 v62, s3, 53
	s_and_b64 s[2:3], s[48:49], s[4:5]
	v_or_b32_e32 v19, v23, v6
	s_and_b64 s[2:3], s[2:3], s[30:31]
	v_cmp_lt_i32_e64 s[6:7], -1, v19
	v_writelane_b32 v62, s2, 54
	v_or_b32_e32 v26, v13, v10
	v_writelane_b32 v62, s3, 55
	s_and_b64 s[2:3], s[46:47], s[6:7]
	v_or_b32_e32 v19, v26, v6
	s_and_b64 s[2:3], s[2:3], s[30:31]
	v_cmp_lt_i32_e64 s[8:9], -1, v19
	v_writelane_b32 v62, s2, 56
	v_or_b32_e32 v24, v16, v10
	v_writelane_b32 v62, s3, 57
	s_and_b64 s[2:3], s[44:45], s[8:9]
	v_or_b32_e32 v19, v24, v6
	s_and_b64 s[2:3], s[2:3], s[30:31]
	v_cmp_lt_i32_e64 s[10:11], -1, v19
	v_writelane_b32 v62, s2, 58
	v_or_b32_e32 v19, v1, v8
	v_writelane_b32 v62, s3, 59
	s_and_b64 s[2:3], s[42:43], s[10:11]
	v_or_b32_e32 v20, v19, v6
	s_and_b64 s[2:3], s[2:3], s[30:31]
	v_cmp_lt_i32_e64 s[12:13], -1, v20
	v_writelane_b32 v62, s2, 60
	v_or_b32_e32 v20, v13, v8
	v_writelane_b32 v62, s3, 61
	s_and_b64 s[2:3], s[40:41], s[12:13]
	v_or_b32_e32 v21, v20, v6
	s_and_b64 s[2:3], s[2:3], s[30:31]
	v_cmp_lt_i32_e64 s[14:15], -1, v21
	v_writelane_b32 v62, s2, 62
	v_or_b32_e32 v21, v16, v8
	v_writelane_b32 v62, s3, 63
	s_and_b64 s[2:3], s[34:35], s[14:15]
	v_or_b32_e32 v27, v21, v6
	s_and_b64 s[2:3], s[2:3], s[30:31]
	v_cmp_lt_i32_e64 s[16:17], -1, v27
	v_writelane_b32 v63, s2, 0
	v_writelane_b32 v63, s3, 1
	s_and_b64 s[2:3], s[0:1], s[16:17]
	v_or_b32_e32 v27, v3, v15
	s_and_b64 s[2:3], s[2:3], s[30:31]
	v_cmp_lt_i32_e64 s[18:19], -1, v27
	v_or_b32_e32 v27, v22, v15
	v_writelane_b32 v63, s2, 2
	v_cmp_lt_i32_e64 s[20:21], -1, v27
	v_or_b32_e32 v27, v25, v15
	v_writelane_b32 v63, s3, 3
	v_cmp_gt_i32_e64 s[2:3], s85, v15
	s_and_b64 s[4:5], s[52:53], s[18:19]
	v_cmp_lt_i32_e64 s[22:23], -1, v27
	v_or_b32_e32 v27, v23, v15
	s_and_b64 s[58:59], s[4:5], s[2:3]
	s_and_b64 s[4:5], s[50:51], s[20:21]
	v_cmp_lt_i32_e64 s[24:25], -1, v27
	v_or_b32_e32 v27, v26, v15
	s_and_b64 s[60:61], s[4:5], s[2:3]
	;; [unrolled: 4-line block ×4, first 2 shown]
	s_and_b64 s[4:5], s[44:45], s[26:27]
	v_cmp_lt_i32_e32 vcc, -1, v27
	v_or_b32_e32 v27, v20, v15
	s_and_b64 s[74:75], s[4:5], s[2:3]
	s_and_b64 s[4:5], s[42:43], s[28:29]
	;; [unrolled: 1-line block ×3, first 2 shown]
	s_and_b64 s[4:5], s[40:41], vcc
	v_cmp_lt_i32_e32 vcc, -1, v27
	v_ashrrev_i32_e32 v27, 31, v14
	v_xor_b32_e32 v27, s54, v27
	v_xor_b32_e32 v2, v2, v27
	v_or_b32_e32 v28, v21, v15
	v_sub_u32_e32 v27, v2, v27
	s_and_b64 s[70:71], s[4:5], s[2:3]
	s_and_b64 s[4:5], s[34:35], vcc
	v_cmp_lt_i32_e32 vcc, -1, v28
	v_or_b32_e32 v2, v3, v27
	s_and_b64 s[88:89], s[4:5], s[2:3]
	s_and_b64 s[4:5], s[0:1], vcc
	v_cmp_lt_i32_e32 vcc, -1, v2
	v_or_b32_e32 v2, v22, v27
	v_readlane_b32 s84, v62, 16
	s_and_b64 s[8:9], s[52:53], vcc
	v_cmp_lt_i32_e32 vcc, -1, v2
	v_or_b32_e32 v2, v25, v27
	v_mul_lo_u32 v60, v58, s84
	s_and_b64 s[10:11], s[50:51], vcc
	v_cmp_lt_i32_e32 vcc, -1, v2
	v_or_b32_e32 v2, v23, v27
	s_and_b64 s[12:13], s[48:49], vcc
	v_cmp_lt_i32_e32 vcc, -1, v2
	v_or_b32_e32 v2, v26, v27
	s_and_b64 s[64:65], s[4:5], s[2:3]
	s_and_b64 s[14:15], s[46:47], vcc
	v_cmp_lt_i32_e32 vcc, -1, v2
	v_or_b32_e32 v2, v24, v27
	v_readlane_b32 s2, v62, 17
	s_and_b64 s[16:17], s[44:45], vcc
	v_cmp_lt_i32_e32 vcc, -1, v2
	v_mul_lo_u32 v2, s2, v60
	v_readlane_b32 s2, v62, 18
	v_mul_lo_u32 v22, s2, v29
	v_readlane_b32 s4, v62, 22
	v_ashrrev_i32_e32 v3, 31, v2
	v_lshlrev_b64 v[2:3], 1, v[2:3]
	v_readlane_b32 s5, v62, 23
	s_and_b64 s[18:19], s[42:43], vcc
	v_mov_b32_e32 v23, s5
	v_add_co_u32_e32 v2, vcc, s4, v2
	v_readlane_b32 s3, v62, 19
	v_addc_co_u32_e32 v3, vcc, v23, v3, vcc
	v_ashrrev_i32_e32 v23, 31, v22
	v_readlane_b32 s2, v62, 7
	v_mul_lo_u32 v25, v6, s76
	v_lshlrev_b64 v[22:23], 1, v[22:23]
	v_readlane_b32 s3, v62, 8
	v_mov_b32_e32 v24, s3
	v_mul_lo_u32 v26, v4, s77
	v_mul_lo_u32 v28, v10, s77
	;; [unrolled: 1-line block ×3, first 2 shown]
	v_add_co_u32_e32 v22, vcc, s2, v22
	v_mul_lo_u32 v30, v15, s76
	s_mov_b64 s[28:29], s[76:77]
	buffer_store_dword v22, off, s[96:99], 0 ; 4-byte Folded Spill
	v_addc_co_u32_e32 v22, vcc, v24, v23, vcc
	v_cmp_eq_u32_e32 vcc, v25, v7
	v_mul_lo_u32 v7, v27, s28
	s_mov_b64 s[30:31], s[78:79]
	v_cmp_eq_u32_e64 s[2:3], v26, v9
	v_cmp_eq_u32_e64 s[4:5], v28, v12
	;; [unrolled: 1-line block ×3, first 2 shown]
	s_and_b64 s[20:21], vcc, s[2:3]
	s_and_b64 s[22:23], vcc, s[4:5]
	;; [unrolled: 1-line block ×3, first 2 shown]
	v_cmp_eq_u32_e32 vcc, v30, v17
	v_mul_lo_u32 v11, v16, s30
	s_and_b64 s[26:27], vcc, s[2:3]
	s_and_b64 s[28:29], vcc, s[4:5]
	;; [unrolled: 1-line block ×3, first 2 shown]
	v_cmp_eq_u32_e32 vcc, v7, v14
	v_or_b32_e32 v7, v19, v27
	s_and_b64 s[42:43], vcc, s[2:3]
	s_and_b64 s[48:49], vcc, s[4:5]
	;; [unrolled: 1-line block ×3, first 2 shown]
	v_cmp_lt_i32_e32 vcc, -1, v7
	v_or_b32_e32 v7, v20, v27
	s_and_b64 s[2:3], s[40:41], vcc
	v_cmp_lt_i32_e32 vcc, -1, v7
	v_or_b32_e32 v7, v21, v27
	s_and_b64 s[4:5], s[34:35], vcc
	v_cmp_lt_i32_e32 vcc, -1, v7
	v_mul_lo_u32 v7, v1, s30
	v_cmp_eq_u32_e64 s[54:55], v11, v0
	v_mul_lo_u32 v0, v6, s86
	v_mul_lo_u32 v9, v13, s30
	v_cmp_eq_u32_e64 s[50:51], v7, v5
	s_and_b64 s[6:7], s[0:1], vcc
	v_add_u32_e32 v5, v4, v0
	v_mul_lo_u32 v7, v5, s87
	v_cmp_eq_u32_e64 s[52:53], v9, v18
	v_add_u32_e32 v9, v10, v0
	v_add_u32_e32 v0, v8, v0
	;; [unrolled: 1-line block ×5, first 2 shown]
	v_mul_lo_u32 v0, v0, s87
	v_mul_lo_u32 v7, v15, s86
	;; [unrolled: 1-line block ×3, first 2 shown]
	v_cmp_gt_i32_e32 vcc, s85, v27
	v_add_u32_e32 v14, v1, v0
	v_add_u32_e32 v25, v13, v0
	;; [unrolled: 1-line block ×4, first 2 shown]
	v_mul_lo_u32 v0, v0, s87
	v_add_u32_e32 v19, v1, v9
	v_add_u32_e32 v21, v13, v9
	;; [unrolled: 1-line block ×6, first 2 shown]
	v_mul_lo_u32 v0, v27, s86
	v_add_u32_e32 v9, v4, v7
	v_add_u32_e32 v7, v8, v7
	v_mul_lo_u32 v7, v7, s87
	v_add_u32_e32 v4, v4, v0
	v_mul_lo_u32 v4, v4, s87
	v_mul_lo_u32 v9, v9, s87
	v_add_u32_e32 v42, v1, v7
	v_add_u32_e32 v44, v13, v7
	;; [unrolled: 1-line block ×7, first 2 shown]
	v_mul_lo_u32 v27, v7, s87
	v_add_u32_e32 v7, v16, v4
	v_mul_lo_u32 v4, v0, s87
	v_ashrrev_i32_e32 v6, 31, v5
	v_add_u32_e32 v32, v13, v9
	v_add_u32_e32 v52, v13, v27
	;; [unrolled: 1-line block ×4, first 2 shown]
	v_mov_b32_e32 v13, v58
	v_add_u32_e32 v58, v16, v4
	v_lshlrev_b64 v[4:5], 1, v[5:6]
	buffer_store_dword v22, off, s[96:99], 0 offset:4 ; 4-byte Folded Spill
	v_ashrrev_i32_e32 v12, 31, v11
	buffer_store_dword v4, off, s[96:99], 0 offset:12 ; 4-byte Folded Spill
	s_nop 0
	buffer_store_dword v5, off, s[96:99], 0 offset:16 ; 4-byte Folded Spill
	v_lshlrev_b64 v[4:5], 1, v[11:12]
	v_ashrrev_i32_e32 v18, 31, v17
	buffer_store_dword v4, off, s[96:99], 0 offset:20 ; 4-byte Folded Spill
	s_nop 0
	buffer_store_dword v5, off, s[96:99], 0 offset:24 ; 4-byte Folded Spill
	v_lshlrev_b64 v[4:5], 1, v[17:18]
	;; [unrolled: 5-line block ×8, first 2 shown]
	v_add_u32_e32 v30, v1, v9
	v_ashrrev_i32_e32 v31, 31, v30
	buffer_store_dword v4, off, s[96:99], 0 offset:76 ; 4-byte Folded Spill
	s_nop 0
	buffer_store_dword v5, off, s[96:99], 0 offset:80 ; 4-byte Folded Spill
	v_lshlrev_b64 v[4:5], 1, v[30:31]
	v_ashrrev_i32_e32 v33, 31, v32
	buffer_store_dword v4, off, s[96:99], 0 offset:84 ; 4-byte Folded Spill
	s_nop 0
	buffer_store_dword v5, off, s[96:99], 0 offset:88 ; 4-byte Folded Spill
	v_lshlrev_b64 v[4:5], 1, v[32:33]
	v_add_u32_e32 v34, v16, v9
	v_ashrrev_i32_e32 v35, 31, v34
	buffer_store_dword v4, off, s[96:99], 0 offset:92 ; 4-byte Folded Spill
	s_nop 0
	buffer_store_dword v5, off, s[96:99], 0 offset:96 ; 4-byte Folded Spill
	v_lshlrev_b64 v[4:5], 1, v[34:35]
	v_ashrrev_i32_e32 v37, 31, v36
	buffer_store_dword v4, off, s[96:99], 0 offset:100 ; 4-byte Folded Spill
	s_nop 0
	buffer_store_dword v5, off, s[96:99], 0 offset:104 ; 4-byte Folded Spill
	v_lshlrev_b64 v[4:5], 1, v[36:37]
	;; [unrolled: 5-line block ×10, first 2 shown]
	v_add_u32_e32 v9, v1, v27
	v_ashrrev_i32_e32 v10, 31, v9
	buffer_store_dword v4, off, s[96:99], 0 offset:172 ; 4-byte Folded Spill
	s_nop 0
	buffer_store_dword v5, off, s[96:99], 0 offset:176 ; 4-byte Folded Spill
	v_lshlrev_b64 v[4:5], 1, v[9:10]
	v_ashrrev_i32_e32 v53, 31, v52
	buffer_store_dword v4, off, s[96:99], 0 offset:180 ; 4-byte Folded Spill
	s_nop 0
	buffer_store_dword v5, off, s[96:99], 0 offset:184 ; 4-byte Folded Spill
	v_lshlrev_b64 v[4:5], 1, v[52:53]
	v_add_u32_e32 v54, v16, v27
	v_ashrrev_i32_e32 v55, 31, v54
	v_ashrrev_i32_e32 v1, 31, v0
	buffer_store_dword v4, off, s[96:99], 0 offset:188 ; 4-byte Folded Spill
	s_nop 0
	buffer_store_dword v5, off, s[96:99], 0 offset:192 ; 4-byte Folded Spill
	v_lshlrev_b64 v[4:5], 1, v[54:55]
	v_lshlrev_b64 v[0:1], 1, v[0:1]
	v_ashrrev_i32_e32 v57, 31, v56
	buffer_store_dword v4, off, s[96:99], 0 offset:196 ; 4-byte Folded Spill
	s_nop 0
	buffer_store_dword v5, off, s[96:99], 0 offset:200 ; 4-byte Folded Spill
	buffer_store_dword v0, off, s[96:99], 0 offset:204 ; 4-byte Folded Spill
	s_nop 0
	buffer_store_dword v1, off, s[96:99], 0 offset:208 ; 4-byte Folded Spill
	s_and_b64 s[66:67], s[8:9], vcc
	s_and_b64 s[82:83], s[10:11], vcc
	;; [unrolled: 1-line block ×9, first 2 shown]
	s_and_b64 vcc, s[20:21], s[50:51]
	s_and_b64 s[2:3], s[20:21], s[52:53]
	s_and_b64 s[4:5], s[20:21], s[54:55]
	;; [unrolled: 1-line block ×26, first 2 shown]
	v_lshlrev_b64 v[0:1], 1, v[56:57]
	v_readlane_b32 s56, v62, 18
	v_readlane_b32 s57, v62, 19
	v_ashrrev_i32_e32 v59, 31, v58
	buffer_store_dword v0, off, s[96:99], 0 offset:212 ; 4-byte Folded Spill
	s_nop 0
	buffer_store_dword v1, off, s[96:99], 0 offset:216 ; 4-byte Folded Spill
	s_mul_i32 s56, s57, s84
	v_lshlrev_b64 v[0:1], 1, v[58:59]
	v_mul_lo_u32 v58, s56, v13
	buffer_store_dword v0, off, s[96:99], 0 offset:220 ; 4-byte Folded Spill
	s_nop 0
	buffer_store_dword v1, off, s[96:99], 0 offset:224 ; 4-byte Folded Spill
	s_mov_b64 s[86:87], 0
	v_add_u32_e32 v1, s84, v60
	buffer_store_dword v13, off, s[96:99], 0 offset:248 ; 4-byte Folded Spill
	s_branch .LBB28_5
.LBB28_4:                               ;   in Loop: Header=BB28_5 Depth=2
	s_or_b64 exec, exec, s[84:85]
	v_lshlrev_b32_e32 v0, 16, v0
	v_fma_f32 v0, v59, v0, v61
	v_cndmask_b32_e32 v0, v61, v0, vcc
	s_waitcnt vmcnt(25)
	v_lshlrev_b32_e32 v4, 16, v6
	v_fma_f32 v4, v8, v4, v0
	v_cndmask_b32_e64 v0, v0, v4, s[2:3]
	s_waitcnt vmcnt(24)
	v_lshlrev_b32_e32 v4, 16, v9
	v_fma_f32 v4, v7, v4, v0
	v_cndmask_b32_e64 v0, v0, v4, s[4:5]
	;; [unrolled: 4-line block ×23, first 2 shown]
	s_waitcnt vmcnt(0)
	v_lshlrev_b32_e32 v4, 16, v53
	v_fma_f32 v4, v51, v4, v0
	v_add_co_u32_e64 v2, s[56:57], 54, v2
	v_cndmask_b32_e64 v0, v0, v4, s[50:51]
	v_lshlrev_b32_e32 v4, 16, v54
	v_addc_co_u32_e64 v3, s[56:57], 0, v3, s[56:57]
	v_add_u32_e32 v60, 1, v60
	v_fma_f32 v4, v56, v4, v0
	v_cmp_ge_i32_e64 s[56:57], v60, v1
	v_cndmask_b32_e64 v0, v0, v4, s[52:53]
	v_lshlrev_b32_e32 v4, 16, v57
	s_or_b64 s[86:87], s[56:57], s[86:87]
	v_readlane_b32 s56, v62, 18
	v_fma_f32 v4, v55, v4, v0
	v_readlane_b32 s57, v62, 19
	v_cndmask_b32_e64 v61, v0, v4, s[54:55]
	v_add_u32_e32 v58, s57, v58
	s_andn2_b64 exec, exec, s[86:87]
	s_cbranch_execz .LBB28_59
.LBB28_5:                               ;   Parent Loop BB28_2 Depth=1
                                        ; =>  This Inner Loop Header: Depth=2
	buffer_load_dword v6, off, s[96:99], 0  ; 4-byte Folded Reload
	v_ashrrev_i32_e32 v59, 31, v58
	v_lshlrev_b64 v[4:5], 1, v[58:59]
	global_load_ushort v0, v[2:3], off
	v_mov_b32_e32 v59, 0
	s_waitcnt vmcnt(1)
	v_add_co_u32_e64 v4, s[56:57], v6, v4
	buffer_load_dword v6, off, s[96:99], 0 offset:4 ; 4-byte Folded Reload
	s_waitcnt vmcnt(0)
	v_addc_co_u32_e64 v5, s[56:57], v6, v5, s[56:57]
	s_mov_b64 s[84:85], exec
	v_readlane_b32 s56, v62, 50
	v_readlane_b32 s57, v62, 51
	s_and_b64 s[56:57], s[84:85], s[56:57]
	s_mov_b64 exec, s[56:57]
	s_cbranch_execz .LBB28_7
; %bb.6:                                ;   in Loop: Header=BB28_5 Depth=2
	buffer_load_dword v6, off, s[96:99], 0 offset:12 ; 4-byte Folded Reload
	buffer_load_dword v7, off, s[96:99], 0 offset:16 ; 4-byte Folded Reload
	s_waitcnt vmcnt(1)
	v_add_co_u32_e64 v6, s[56:57], v4, v6
	s_waitcnt vmcnt(0)
	v_addc_co_u32_e64 v7, s[56:57], v5, v7, s[56:57]
	global_load_ushort v6, v[6:7], off
	s_waitcnt vmcnt(0)
	v_lshlrev_b32_e32 v59, 16, v6
.LBB28_7:                               ;   in Loop: Header=BB28_5 Depth=2
	s_or_b64 exec, exec, s[84:85]
	global_load_ushort v6, v[2:3], off offset:2
	v_mov_b32_e32 v7, 0
	v_mov_b32_e32 v8, 0
	s_mov_b64 s[84:85], exec
	v_readlane_b32 s56, v62, 52
	v_readlane_b32 s57, v62, 53
	s_and_b64 s[56:57], s[84:85], s[56:57]
	s_mov_b64 exec, s[56:57]
	s_cbranch_execz .LBB28_9
; %bb.8:                                ;   in Loop: Header=BB28_5 Depth=2
	buffer_load_dword v8, off, s[96:99], 0 offset:20 ; 4-byte Folded Reload
	buffer_load_dword v9, off, s[96:99], 0 offset:24 ; 4-byte Folded Reload
	s_waitcnt vmcnt(1)
	v_add_co_u32_e64 v8, s[56:57], v4, v8
	s_waitcnt vmcnt(0)
	v_addc_co_u32_e64 v9, s[56:57], v5, v9, s[56:57]
	global_load_ushort v8, v[8:9], off
	s_waitcnt vmcnt(0)
	v_lshlrev_b32_e32 v8, 16, v8
.LBB28_9:                               ;   in Loop: Header=BB28_5 Depth=2
	s_or_b64 exec, exec, s[84:85]
	global_load_ushort v9, v[2:3], off offset:4
	s_mov_b64 s[84:85], exec
	v_readlane_b32 s56, v62, 54
	v_readlane_b32 s57, v62, 55
	s_and_b64 s[56:57], s[84:85], s[56:57]
	s_mov_b64 exec, s[56:57]
	s_cbranch_execz .LBB28_11
; %bb.10:                               ;   in Loop: Header=BB28_5 Depth=2
	buffer_load_dword v10, off, s[96:99], 0 offset:28 ; 4-byte Folded Reload
	buffer_load_dword v11, off, s[96:99], 0 offset:32 ; 4-byte Folded Reload
	s_waitcnt vmcnt(1)
	v_add_co_u32_e64 v10, s[56:57], v4, v10
	s_waitcnt vmcnt(0)
	v_addc_co_u32_e64 v11, s[56:57], v5, v11, s[56:57]
	global_load_ushort v7, v[10:11], off
	s_waitcnt vmcnt(0)
	v_lshlrev_b32_e32 v7, 16, v7
.LBB28_11:                              ;   in Loop: Header=BB28_5 Depth=2
	s_or_b64 exec, exec, s[84:85]
	global_load_ushort v10, v[2:3], off offset:6
	v_mov_b32_e32 v11, 0
	v_mov_b32_e32 v12, 0
	s_mov_b64 s[84:85], exec
	v_readlane_b32 s56, v62, 56
	v_readlane_b32 s57, v62, 57
	s_and_b64 s[56:57], s[84:85], s[56:57]
	s_mov_b64 exec, s[56:57]
	s_cbranch_execz .LBB28_13
; %bb.12:                               ;   in Loop: Header=BB28_5 Depth=2
	buffer_load_dword v12, off, s[96:99], 0 offset:36 ; 4-byte Folded Reload
	buffer_load_dword v13, off, s[96:99], 0 offset:40 ; 4-byte Folded Reload
	s_waitcnt vmcnt(1)
	v_add_co_u32_e64 v12, s[56:57], v4, v12
	s_waitcnt vmcnt(0)
	v_addc_co_u32_e64 v13, s[56:57], v5, v13, s[56:57]
	global_load_ushort v12, v[12:13], off
	s_waitcnt vmcnt(0)
	v_lshlrev_b32_e32 v12, 16, v12
.LBB28_13:                              ;   in Loop: Header=BB28_5 Depth=2
	s_or_b64 exec, exec, s[84:85]
	global_load_ushort v13, v[2:3], off offset:8
	s_mov_b64 s[84:85], exec
	v_readlane_b32 s56, v62, 58
	v_readlane_b32 s57, v62, 59
	s_and_b64 s[56:57], s[84:85], s[56:57]
	s_mov_b64 exec, s[56:57]
	s_cbranch_execz .LBB28_15
; %bb.14:                               ;   in Loop: Header=BB28_5 Depth=2
	buffer_load_dword v14, off, s[96:99], 0 offset:44 ; 4-byte Folded Reload
	buffer_load_dword v15, off, s[96:99], 0 offset:48 ; 4-byte Folded Reload
	s_waitcnt vmcnt(1)
	v_add_co_u32_e64 v14, s[56:57], v4, v14
	s_waitcnt vmcnt(0)
	v_addc_co_u32_e64 v15, s[56:57], v5, v15, s[56:57]
	global_load_ushort v11, v[14:15], off
	s_waitcnt vmcnt(0)
	v_lshlrev_b32_e32 v11, 16, v11
.LBB28_15:                              ;   in Loop: Header=BB28_5 Depth=2
	s_or_b64 exec, exec, s[84:85]
	global_load_ushort v14, v[2:3], off offset:10
	v_mov_b32_e32 v15, 0
	v_mov_b32_e32 v16, 0
	s_mov_b64 s[84:85], exec
	v_readlane_b32 s56, v62, 60
	v_readlane_b32 s57, v62, 61
	s_and_b64 s[56:57], s[84:85], s[56:57]
	s_mov_b64 exec, s[56:57]
	s_cbranch_execz .LBB28_17
; %bb.16:                               ;   in Loop: Header=BB28_5 Depth=2
	buffer_load_dword v16, off, s[96:99], 0 offset:52 ; 4-byte Folded Reload
	buffer_load_dword v17, off, s[96:99], 0 offset:56 ; 4-byte Folded Reload
	s_waitcnt vmcnt(1)
	v_add_co_u32_e64 v16, s[56:57], v4, v16
	s_waitcnt vmcnt(0)
	v_addc_co_u32_e64 v17, s[56:57], v5, v17, s[56:57]
	global_load_ushort v16, v[16:17], off
	s_waitcnt vmcnt(0)
	v_lshlrev_b32_e32 v16, 16, v16
.LBB28_17:                              ;   in Loop: Header=BB28_5 Depth=2
	;; [unrolled: 40-line block ×3, first 2 shown]
	s_or_b64 exec, exec, s[84:85]
	global_load_ushort v21, v[2:3], off offset:16
	s_mov_b64 s[84:85], exec
	v_readlane_b32 s56, v63, 2
	v_readlane_b32 s57, v63, 3
	s_and_b64 s[56:57], s[84:85], s[56:57]
	s_mov_b64 exec, s[56:57]
	s_cbranch_execz .LBB28_23
; %bb.22:                               ;   in Loop: Header=BB28_5 Depth=2
	buffer_load_dword v22, off, s[96:99], 0 offset:76 ; 4-byte Folded Reload
	buffer_load_dword v23, off, s[96:99], 0 offset:80 ; 4-byte Folded Reload
	s_waitcnt vmcnt(1)
	v_add_co_u32_e64 v22, s[56:57], v4, v22
	s_waitcnt vmcnt(0)
	v_addc_co_u32_e64 v23, s[56:57], v5, v23, s[56:57]
	global_load_ushort v19, v[22:23], off
	s_waitcnt vmcnt(0)
	v_lshlrev_b32_e32 v19, 16, v19
.LBB28_23:                              ;   in Loop: Header=BB28_5 Depth=2
	s_or_b64 exec, exec, s[84:85]
	global_load_ushort v22, v[2:3], off offset:18
	v_mov_b32_e32 v23, 0
	v_mov_b32_e32 v24, 0
	s_and_saveexec_b64 s[84:85], s[58:59]
	s_cbranch_execz .LBB28_25
; %bb.24:                               ;   in Loop: Header=BB28_5 Depth=2
	buffer_load_dword v24, off, s[96:99], 0 offset:84 ; 4-byte Folded Reload
	buffer_load_dword v25, off, s[96:99], 0 offset:88 ; 4-byte Folded Reload
	s_waitcnt vmcnt(1)
	v_add_co_u32_e64 v24, s[56:57], v4, v24
	s_waitcnt vmcnt(0)
	v_addc_co_u32_e64 v25, s[56:57], v5, v25, s[56:57]
	global_load_ushort v24, v[24:25], off
	s_waitcnt vmcnt(0)
	v_lshlrev_b32_e32 v24, 16, v24
.LBB28_25:                              ;   in Loop: Header=BB28_5 Depth=2
	s_or_b64 exec, exec, s[84:85]
	global_load_ushort v25, v[2:3], off offset:20
	s_and_saveexec_b64 s[84:85], s[60:61]
	s_cbranch_execz .LBB28_27
; %bb.26:                               ;   in Loop: Header=BB28_5 Depth=2
	buffer_load_dword v26, off, s[96:99], 0 offset:92 ; 4-byte Folded Reload
	buffer_load_dword v27, off, s[96:99], 0 offset:96 ; 4-byte Folded Reload
	s_waitcnt vmcnt(1)
	v_add_co_u32_e64 v26, s[56:57], v4, v26
	s_waitcnt vmcnt(0)
	v_addc_co_u32_e64 v27, s[56:57], v5, v27, s[56:57]
	global_load_ushort v23, v[26:27], off
	s_waitcnt vmcnt(0)
	v_lshlrev_b32_e32 v23, 16, v23
.LBB28_27:                              ;   in Loop: Header=BB28_5 Depth=2
	s_or_b64 exec, exec, s[84:85]
	global_load_ushort v26, v[2:3], off offset:22
	v_mov_b32_e32 v27, 0
	v_mov_b32_e32 v28, 0
	s_and_saveexec_b64 s[84:85], s[62:63]
	s_cbranch_execz .LBB28_29
; %bb.28:                               ;   in Loop: Header=BB28_5 Depth=2
	buffer_load_dword v28, off, s[96:99], 0 offset:100 ; 4-byte Folded Reload
	buffer_load_dword v29, off, s[96:99], 0 offset:104 ; 4-byte Folded Reload
	s_waitcnt vmcnt(1)
	v_add_co_u32_e64 v28, s[56:57], v4, v28
	s_waitcnt vmcnt(0)
	v_addc_co_u32_e64 v29, s[56:57], v5, v29, s[56:57]
	global_load_ushort v28, v[28:29], off
	s_waitcnt vmcnt(0)
	v_lshlrev_b32_e32 v28, 16, v28
.LBB28_29:                              ;   in Loop: Header=BB28_5 Depth=2
	s_or_b64 exec, exec, s[84:85]
	global_load_ushort v29, v[2:3], off offset:24
	s_and_saveexec_b64 s[84:85], s[72:73]
	s_cbranch_execz .LBB28_31
; %bb.30:                               ;   in Loop: Header=BB28_5 Depth=2
	buffer_load_dword v30, off, s[96:99], 0 offset:108 ; 4-byte Folded Reload
	buffer_load_dword v31, off, s[96:99], 0 offset:112 ; 4-byte Folded Reload
	s_waitcnt vmcnt(1)
	v_add_co_u32_e64 v30, s[56:57], v4, v30
	s_waitcnt vmcnt(0)
	v_addc_co_u32_e64 v31, s[56:57], v5, v31, s[56:57]
	global_load_ushort v27, v[30:31], off
	s_waitcnt vmcnt(0)
	v_lshlrev_b32_e32 v27, 16, v27
.LBB28_31:                              ;   in Loop: Header=BB28_5 Depth=2
	s_or_b64 exec, exec, s[84:85]
	global_load_ushort v30, v[2:3], off offset:26
	v_mov_b32_e32 v31, 0
	v_mov_b32_e32 v32, 0
	s_and_saveexec_b64 s[84:85], s[74:75]
	s_cbranch_execz .LBB28_33
; %bb.32:                               ;   in Loop: Header=BB28_5 Depth=2
	buffer_load_dword v32, off, s[96:99], 0 offset:116 ; 4-byte Folded Reload
	buffer_load_dword v33, off, s[96:99], 0 offset:120 ; 4-byte Folded Reload
	s_waitcnt vmcnt(1)
	v_add_co_u32_e64 v32, s[56:57], v4, v32
	s_waitcnt vmcnt(0)
	v_addc_co_u32_e64 v33, s[56:57], v5, v33, s[56:57]
	global_load_ushort v32, v[32:33], off
	s_waitcnt vmcnt(0)
	v_lshlrev_b32_e32 v32, 16, v32
.LBB28_33:                              ;   in Loop: Header=BB28_5 Depth=2
	s_or_b64 exec, exec, s[84:85]
	global_load_ushort v33, v[2:3], off offset:28
	s_and_saveexec_b64 s[84:85], s[68:69]
	s_cbranch_execz .LBB28_35
; %bb.34:                               ;   in Loop: Header=BB28_5 Depth=2
	buffer_load_dword v34, off, s[96:99], 0 offset:124 ; 4-byte Folded Reload
	buffer_load_dword v35, off, s[96:99], 0 offset:128 ; 4-byte Folded Reload
	s_waitcnt vmcnt(1)
	v_add_co_u32_e64 v34, s[56:57], v4, v34
	s_waitcnt vmcnt(0)
	v_addc_co_u32_e64 v35, s[56:57], v5, v35, s[56:57]
	global_load_ushort v31, v[34:35], off
	s_waitcnt vmcnt(0)
	v_lshlrev_b32_e32 v31, 16, v31
.LBB28_35:                              ;   in Loop: Header=BB28_5 Depth=2
	s_or_b64 exec, exec, s[84:85]
	global_load_ushort v34, v[2:3], off offset:30
	v_mov_b32_e32 v35, 0
	v_mov_b32_e32 v36, 0
	s_and_saveexec_b64 s[84:85], s[70:71]
	s_cbranch_execz .LBB28_37
; %bb.36:                               ;   in Loop: Header=BB28_5 Depth=2
	buffer_load_dword v36, off, s[96:99], 0 offset:132 ; 4-byte Folded Reload
	buffer_load_dword v37, off, s[96:99], 0 offset:136 ; 4-byte Folded Reload
	s_waitcnt vmcnt(1)
	v_add_co_u32_e64 v36, s[56:57], v4, v36
	s_waitcnt vmcnt(0)
	v_addc_co_u32_e64 v37, s[56:57], v5, v37, s[56:57]
	global_load_ushort v36, v[36:37], off
	s_waitcnt vmcnt(0)
	v_lshlrev_b32_e32 v36, 16, v36
.LBB28_37:                              ;   in Loop: Header=BB28_5 Depth=2
	s_or_b64 exec, exec, s[84:85]
	global_load_ushort v37, v[2:3], off offset:32
	s_and_saveexec_b64 s[84:85], s[88:89]
	s_cbranch_execz .LBB28_39
; %bb.38:                               ;   in Loop: Header=BB28_5 Depth=2
	buffer_load_dword v38, off, s[96:99], 0 offset:140 ; 4-byte Folded Reload
	buffer_load_dword v39, off, s[96:99], 0 offset:144 ; 4-byte Folded Reload
	s_waitcnt vmcnt(1)
	v_add_co_u32_e64 v38, s[56:57], v4, v38
	s_waitcnt vmcnt(0)
	v_addc_co_u32_e64 v39, s[56:57], v5, v39, s[56:57]
	global_load_ushort v35, v[38:39], off
	s_waitcnt vmcnt(0)
	v_lshlrev_b32_e32 v35, 16, v35
.LBB28_39:                              ;   in Loop: Header=BB28_5 Depth=2
	s_or_b64 exec, exec, s[84:85]
	global_load_ushort v38, v[2:3], off offset:34
	v_mov_b32_e32 v39, 0
	v_mov_b32_e32 v40, 0
	s_and_saveexec_b64 s[84:85], s[64:65]
	s_cbranch_execz .LBB28_41
; %bb.40:                               ;   in Loop: Header=BB28_5 Depth=2
	buffer_load_dword v40, off, s[96:99], 0 offset:148 ; 4-byte Folded Reload
	buffer_load_dword v41, off, s[96:99], 0 offset:152 ; 4-byte Folded Reload
	s_waitcnt vmcnt(1)
	v_add_co_u32_e64 v40, s[56:57], v4, v40
	s_waitcnt vmcnt(0)
	v_addc_co_u32_e64 v41, s[56:57], v5, v41, s[56:57]
	global_load_ushort v40, v[40:41], off
	s_waitcnt vmcnt(0)
	v_lshlrev_b32_e32 v40, 16, v40
.LBB28_41:                              ;   in Loop: Header=BB28_5 Depth=2
	s_or_b64 exec, exec, s[84:85]
	global_load_ushort v41, v[2:3], off offset:36
	s_and_saveexec_b64 s[84:85], s[66:67]
	s_cbranch_execz .LBB28_43
; %bb.42:                               ;   in Loop: Header=BB28_5 Depth=2
	buffer_load_dword v42, off, s[96:99], 0 offset:156 ; 4-byte Folded Reload
	buffer_load_dword v43, off, s[96:99], 0 offset:160 ; 4-byte Folded Reload
	s_waitcnt vmcnt(1)
	v_add_co_u32_e64 v42, s[56:57], v4, v42
	s_waitcnt vmcnt(0)
	v_addc_co_u32_e64 v43, s[56:57], v5, v43, s[56:57]
	global_load_ushort v39, v[42:43], off
	s_waitcnt vmcnt(0)
	v_lshlrev_b32_e32 v39, 16, v39
.LBB28_43:                              ;   in Loop: Header=BB28_5 Depth=2
	s_or_b64 exec, exec, s[84:85]
	global_load_ushort v42, v[2:3], off offset:38
	v_mov_b32_e32 v43, 0
	v_mov_b32_e32 v44, 0
	s_and_saveexec_b64 s[84:85], s[82:83]
	s_cbranch_execz .LBB28_45
; %bb.44:                               ;   in Loop: Header=BB28_5 Depth=2
	buffer_load_dword v44, off, s[96:99], 0 offset:164 ; 4-byte Folded Reload
	buffer_load_dword v45, off, s[96:99], 0 offset:168 ; 4-byte Folded Reload
	s_waitcnt vmcnt(1)
	v_add_co_u32_e64 v44, s[56:57], v4, v44
	s_waitcnt vmcnt(0)
	v_addc_co_u32_e64 v45, s[56:57], v5, v45, s[56:57]
	global_load_ushort v44, v[44:45], off
	s_waitcnt vmcnt(0)
	v_lshlrev_b32_e32 v44, 16, v44
.LBB28_45:                              ;   in Loop: Header=BB28_5 Depth=2
	s_or_b64 exec, exec, s[84:85]
	global_load_ushort v45, v[2:3], off offset:40
	s_and_saveexec_b64 s[84:85], s[90:91]
	s_cbranch_execz .LBB28_47
; %bb.46:                               ;   in Loop: Header=BB28_5 Depth=2
	buffer_load_dword v46, off, s[96:99], 0 offset:172 ; 4-byte Folded Reload
	buffer_load_dword v47, off, s[96:99], 0 offset:176 ; 4-byte Folded Reload
	s_waitcnt vmcnt(1)
	v_add_co_u32_e64 v46, s[56:57], v4, v46
	s_waitcnt vmcnt(0)
	v_addc_co_u32_e64 v47, s[56:57], v5, v47, s[56:57]
	global_load_ushort v43, v[46:47], off
	s_waitcnt vmcnt(0)
	v_lshlrev_b32_e32 v43, 16, v43
.LBB28_47:                              ;   in Loop: Header=BB28_5 Depth=2
	s_or_b64 exec, exec, s[84:85]
	global_load_ushort v46, v[2:3], off offset:42
	v_mov_b32_e32 v47, 0
	v_mov_b32_e32 v48, 0
	s_and_saveexec_b64 s[84:85], s[92:93]
	s_cbranch_execz .LBB28_49
; %bb.48:                               ;   in Loop: Header=BB28_5 Depth=2
	buffer_load_dword v48, off, s[96:99], 0 offset:180 ; 4-byte Folded Reload
	buffer_load_dword v49, off, s[96:99], 0 offset:184 ; 4-byte Folded Reload
	s_waitcnt vmcnt(1)
	v_add_co_u32_e64 v48, s[56:57], v4, v48
	s_waitcnt vmcnt(0)
	v_addc_co_u32_e64 v49, s[56:57], v5, v49, s[56:57]
	global_load_ushort v48, v[48:49], off
	s_waitcnt vmcnt(0)
	v_lshlrev_b32_e32 v48, 16, v48
.LBB28_49:                              ;   in Loop: Header=BB28_5 Depth=2
	s_or_b64 exec, exec, s[84:85]
	global_load_ushort v49, v[2:3], off offset:44
	s_and_saveexec_b64 s[84:85], s[94:95]
	s_cbranch_execz .LBB28_51
; %bb.50:                               ;   in Loop: Header=BB28_5 Depth=2
	buffer_load_dword v50, off, s[96:99], 0 offset:188 ; 4-byte Folded Reload
	buffer_load_dword v51, off, s[96:99], 0 offset:192 ; 4-byte Folded Reload
	s_waitcnt vmcnt(1)
	v_add_co_u32_e64 v50, s[56:57], v4, v50
	s_waitcnt vmcnt(0)
	v_addc_co_u32_e64 v51, s[56:57], v5, v51, s[56:57]
	global_load_ushort v47, v[50:51], off
	s_waitcnt vmcnt(0)
	v_lshlrev_b32_e32 v47, 16, v47
.LBB28_51:                              ;   in Loop: Header=BB28_5 Depth=2
	s_or_b64 exec, exec, s[84:85]
	global_load_ushort v50, v[2:3], off offset:46
	v_mov_b32_e32 v51, 0
	v_mov_b32_e32 v52, 0
	s_and_saveexec_b64 s[84:85], s[0:1]
	s_cbranch_execz .LBB28_53
; %bb.52:                               ;   in Loop: Header=BB28_5 Depth=2
	buffer_load_dword v52, off, s[96:99], 0 offset:196 ; 4-byte Folded Reload
	buffer_load_dword v53, off, s[96:99], 0 offset:200 ; 4-byte Folded Reload
	s_waitcnt vmcnt(1)
	v_add_co_u32_e64 v52, s[56:57], v4, v52
	s_waitcnt vmcnt(0)
	v_addc_co_u32_e64 v53, s[56:57], v5, v53, s[56:57]
	global_load_ushort v52, v[52:53], off
	s_waitcnt vmcnt(0)
	v_lshlrev_b32_e32 v52, 16, v52
.LBB28_53:                              ;   in Loop: Header=BB28_5 Depth=2
	s_or_b64 exec, exec, s[84:85]
	global_load_ushort v53, v[2:3], off offset:48
	s_and_saveexec_b64 s[84:85], s[76:77]
	s_cbranch_execz .LBB28_55
; %bb.54:                               ;   in Loop: Header=BB28_5 Depth=2
	buffer_load_dword v54, off, s[96:99], 0 offset:204 ; 4-byte Folded Reload
	buffer_load_dword v55, off, s[96:99], 0 offset:208 ; 4-byte Folded Reload
	s_waitcnt vmcnt(1)
	v_add_co_u32_e64 v54, s[56:57], v4, v54
	s_waitcnt vmcnt(0)
	v_addc_co_u32_e64 v55, s[56:57], v5, v55, s[56:57]
	global_load_ushort v51, v[54:55], off
	s_waitcnt vmcnt(0)
	v_lshlrev_b32_e32 v51, 16, v51
.LBB28_55:                              ;   in Loop: Header=BB28_5 Depth=2
	s_or_b64 exec, exec, s[84:85]
	global_load_ushort v54, v[2:3], off offset:50
	v_mov_b32_e32 v55, 0
	v_mov_b32_e32 v56, 0
	s_and_saveexec_b64 s[84:85], s[78:79]
	s_cbranch_execz .LBB28_57
; %bb.56:                               ;   in Loop: Header=BB28_5 Depth=2
	buffer_load_dword v56, off, s[96:99], 0 offset:212 ; 4-byte Folded Reload
	buffer_load_dword v57, off, s[96:99], 0 offset:216 ; 4-byte Folded Reload
	s_waitcnt vmcnt(1)
	v_add_co_u32_e64 v56, s[56:57], v4, v56
	s_waitcnt vmcnt(0)
	v_addc_co_u32_e64 v57, s[56:57], v5, v57, s[56:57]
	global_load_ushort v56, v[56:57], off
	s_waitcnt vmcnt(0)
	v_lshlrev_b32_e32 v56, 16, v56
.LBB28_57:                              ;   in Loop: Header=BB28_5 Depth=2
	s_or_b64 exec, exec, s[84:85]
	global_load_ushort v57, v[2:3], off offset:52
	s_and_saveexec_b64 s[84:85], s[80:81]
	s_cbranch_execz .LBB28_4
; %bb.58:                               ;   in Loop: Header=BB28_5 Depth=2
	s_waitcnt vmcnt(2)
	buffer_store_dword v53, off, s[96:99], 0 offset:8 ; 4-byte Folded Spill
	v_mov_b32_e32 v55, v1
	v_mov_b32_e32 v53, v48
	;; [unrolled: 1-line block ×50, first 2 shown]
	buffer_load_dword v0, off, s[96:99], 0 offset:220 ; 4-byte Folded Reload
	buffer_load_dword v1, off, s[96:99], 0 offset:224 ; 4-byte Folded Reload
	s_waitcnt vmcnt(1)
	v_add_co_u32_e64 v4, s[56:57], v4, v0
	s_waitcnt vmcnt(0)
	v_addc_co_u32_e64 v5, s[56:57], v5, v1, s[56:57]
	global_load_ushort v4, v[4:5], off
	v_mov_b32_e32 v0, v6
	v_mov_b32_e32 v6, v9
	v_mov_b32_e32 v9, v10
	v_mov_b32_e32 v10, v13
	v_mov_b32_e32 v13, v14
	v_mov_b32_e32 v14, v17
	v_mov_b32_e32 v17, v59
	v_mov_b32_e32 v59, v18
	v_mov_b32_e32 v18, v7
	v_mov_b32_e32 v7, v8
	v_mov_b32_e32 v8, v21
	v_mov_b32_e32 v21, v11
	v_mov_b32_e32 v11, v12
	v_mov_b32_e32 v12, v22
	v_mov_b32_e32 v22, v25
	v_mov_b32_e32 v25, v15
	v_mov_b32_e32 v15, v16
	v_mov_b32_e32 v16, v26
	v_mov_b32_e32 v26, v29
	v_mov_b32_e32 v29, v19
	v_mov_b32_e32 v19, v20
	v_mov_b32_e32 v20, v30
	v_mov_b32_e32 v30, v33
	v_mov_b32_e32 v33, v23
	v_mov_b32_e32 v23, v24
	v_mov_b32_e32 v24, v34
	v_mov_b32_e32 v34, v27
	v_mov_b32_e32 v27, v28
	v_mov_b32_e32 v28, v37
	v_mov_b32_e32 v37, v60
	v_mov_b32_e32 v60, v38
	v_mov_b32_e32 v38, v31
	v_mov_b32_e32 v31, v32
	v_mov_b32_e32 v32, v41
	v_mov_b32_e32 v41, v61
	v_mov_b32_e32 v61, v35
	v_mov_b32_e32 v35, v42
	v_mov_b32_e32 v42, v36
	v_mov_b32_e32 v36, v45
	v_mov_b32_e32 v45, v39
	v_mov_b32_e32 v39, v40
	v_mov_b32_e32 v40, v46
	v_mov_b32_e32 v46, v49
	v_mov_b32_e32 v49, v43
	v_mov_b32_e32 v43, v44
	v_mov_b32_e32 v44, v50
	v_mov_b32_e32 v50, v47
	v_mov_b32_e32 v47, v48
	v_mov_b32_e32 v48, v53
	buffer_load_dword v53, off, s[96:99], 0 offset:8 ; 4-byte Folded Reload
	v_mov_b32_e32 v1, v55
	s_waitcnt vmcnt(1)
	v_lshlrev_b32_e32 v55, 16, v4
	s_branch .LBB28_4
.LBB28_59:                              ;   in Loop: Header=BB28_2 Depth=1
	s_or_b64 exec, exec, s[86:87]
	buffer_load_dword v10, off, s[96:99], 0 offset:236 ; 4-byte Folded Reload
	buffer_load_dword v8, off, s[96:99], 0 offset:240 ; 4-byte Folded Reload
	;; [unrolled: 1-line block ×5, first 2 shown]
	v_readlane_b32 s16, v62, 46
	v_readlane_b32 s17, v62, 47
	s_branch .LBB28_61
.LBB28_60:                              ;   in Loop: Header=BB28_2 Depth=1
	v_mov_b32_e32 v61, 0
.LBB28_61:                              ;   in Loop: Header=BB28_2 Depth=1
	v_readlane_b32 s8, v62, 48
	v_readlane_b32 s9, v62, 49
; %bb.62:                               ;   in Loop: Header=BB28_2 Depth=1
	v_bfe_u32 v0, v61, 16, 1
	s_movk_i32 s0, 0x7fff
	v_add3_u32 v1, v61, v0, s0
	s_waitcnt vmcnt(0)
	v_mul_lo_u32 v0, v29, s17
	v_cmp_o_f32_e32 vcc, v61, v61
	v_mov_b32_e32 v2, 0x7fc0
	v_readlane_b32 s4, v62, 24
	v_cndmask_b32_sdwa v4, v2, v1, vcc dst_sel:DWORD dst_unused:UNUSED_PAD src0_sel:DWORD src1_sel:WORD_1
	v_ashrrev_i32_e32 v1, 31, v0
	v_mul_lo_u32 v2, s4, v58
	v_lshlrev_b64 v[0:1], 1, v[0:1]
	v_readlane_b32 s0, v62, 20
	v_readlane_b32 s1, v62, 21
	v_mov_b32_e32 v3, s1
	v_add_co_u32_e32 v5, vcc, s0, v0
	v_readlane_b32 s5, v62, 25
	v_addc_co_u32_e32 v6, vcc, v3, v1, vcc
	v_ashrrev_i32_e32 v3, 31, v2
	v_lshlrev_b64 v[0:1], 1, v[2:3]
	v_mul_lo_u32 v2, s5, v7
	v_readlane_b32 s6, v62, 26
	v_add_co_u32_e32 v5, vcc, v5, v0
	v_ashrrev_i32_e32 v3, 31, v2
	v_addc_co_u32_e32 v6, vcc, v6, v1, vcc
	v_lshlrev_b64 v[0:1], 1, v[2:3]
	v_mul_lo_u32 v2, s6, v8
	v_readlane_b32 s7, v62, 27
	v_add_co_u32_e32 v5, vcc, v5, v0
	v_ashrrev_i32_e32 v3, 31, v2
	v_addc_co_u32_e32 v6, vcc, v6, v1, vcc
	v_lshlrev_b64 v[0:1], 1, v[2:3]
	v_mul_lo_u32 v2, s7, v10
	v_add_co_u32_e32 v5, vcc, v5, v0
	v_addc_co_u32_e32 v6, vcc, v6, v1, vcc
	v_ashrrev_i32_e32 v3, 31, v2
	v_lshlrev_b64 v[0:1], 1, v[2:3]
	buffer_load_dword v2, off, s[96:99], 0 offset:228 ; 4-byte Folded Reload
	buffer_load_dword v3, off, s[96:99], 0 offset:232 ; 4-byte Folded Reload
	v_readlane_b32 s0, v62, 28
	v_add_co_u32_e64 v0, s[2:3], v5, v0
	v_addc_co_u32_e64 v1, s[2:3], v6, v1, s[2:3]
	global_store_short v[0:1], v4, off
	s_waitcnt vmcnt(2)
	v_add_co_u32_e32 v2, vcc, s0, v2
	v_readlane_b32 s0, v62, 5
	s_waitcnt vmcnt(1)
	v_addc_co_u32_e32 v3, vcc, 0, v3, vcc
	v_readlane_b32 s1, v62, 6
	v_cmp_le_i64_e32 vcc, s[0:1], v[2:3]
	s_or_b64 s[8:9], vcc, s[8:9]
	s_andn2_b64 exec, exec, s[8:9]
	s_cbranch_execnz .LBB28_2
.LBB28_63:
	s_endpgm
	.section	.rodata,"a",@progbits
	.p2align	6, 0x0
	.amdhsa_kernel _ZN2at6native12_GLOBAL__N_143conv_depthwise3d_cuda_backward_input_kernelIN3c108BFloat16EfLi3ELi3ELi3ELi1ELi1ELi1ELin1ELin1ELin1EEEvN5torch10headeronly6detail27GenericPackedTensorAccessorINS7_14TensorAccessorINS3_8ArrayRefIlEEKT_Lm4ENS6_16DefaultPtrTraitsEiEENS_6detail16IndexBoundsCheckILm5EiEESD_Lm5ESE_iEENS8_INS9_ISB_SC_Lm4ESE_iEESI_SC_Lm5ESE_iEESJ_iiiiiiiii
		.amdhsa_group_segment_fixed_size 0
		.amdhsa_private_segment_fixed_size 288
		.amdhsa_kernarg_size 440
		.amdhsa_user_sgpr_count 6
		.amdhsa_user_sgpr_private_segment_buffer 1
		.amdhsa_user_sgpr_dispatch_ptr 0
		.amdhsa_user_sgpr_queue_ptr 0
		.amdhsa_user_sgpr_kernarg_segment_ptr 1
		.amdhsa_user_sgpr_dispatch_id 0
		.amdhsa_user_sgpr_flat_scratch_init 0
		.amdhsa_user_sgpr_private_segment_size 0
		.amdhsa_uses_dynamic_stack 0
		.amdhsa_system_sgpr_private_segment_wavefront_offset 1
		.amdhsa_system_sgpr_workgroup_id_x 1
		.amdhsa_system_sgpr_workgroup_id_y 0
		.amdhsa_system_sgpr_workgroup_id_z 0
		.amdhsa_system_sgpr_workgroup_info 0
		.amdhsa_system_vgpr_workitem_id 0
		.amdhsa_next_free_vgpr 64
		.amdhsa_next_free_sgpr 100
		.amdhsa_reserve_vcc 1
		.amdhsa_reserve_flat_scratch 0
		.amdhsa_float_round_mode_32 0
		.amdhsa_float_round_mode_16_64 0
		.amdhsa_float_denorm_mode_32 3
		.amdhsa_float_denorm_mode_16_64 3
		.amdhsa_dx10_clamp 1
		.amdhsa_ieee_mode 1
		.amdhsa_fp16_overflow 0
		.amdhsa_exception_fp_ieee_invalid_op 0
		.amdhsa_exception_fp_denorm_src 0
		.amdhsa_exception_fp_ieee_div_zero 0
		.amdhsa_exception_fp_ieee_overflow 0
		.amdhsa_exception_fp_ieee_underflow 0
		.amdhsa_exception_fp_ieee_inexact 0
		.amdhsa_exception_int_div_zero 0
	.end_amdhsa_kernel
	.section	.text._ZN2at6native12_GLOBAL__N_143conv_depthwise3d_cuda_backward_input_kernelIN3c108BFloat16EfLi3ELi3ELi3ELi1ELi1ELi1ELin1ELin1ELin1EEEvN5torch10headeronly6detail27GenericPackedTensorAccessorINS7_14TensorAccessorINS3_8ArrayRefIlEEKT_Lm4ENS6_16DefaultPtrTraitsEiEENS_6detail16IndexBoundsCheckILm5EiEESD_Lm5ESE_iEENS8_INS9_ISB_SC_Lm4ESE_iEESI_SC_Lm5ESE_iEESJ_iiiiiiiii,"axG",@progbits,_ZN2at6native12_GLOBAL__N_143conv_depthwise3d_cuda_backward_input_kernelIN3c108BFloat16EfLi3ELi3ELi3ELi1ELi1ELi1ELin1ELin1ELin1EEEvN5torch10headeronly6detail27GenericPackedTensorAccessorINS7_14TensorAccessorINS3_8ArrayRefIlEEKT_Lm4ENS6_16DefaultPtrTraitsEiEENS_6detail16IndexBoundsCheckILm5EiEESD_Lm5ESE_iEENS8_INS9_ISB_SC_Lm4ESE_iEESI_SC_Lm5ESE_iEESJ_iiiiiiiii,comdat
.Lfunc_end28:
	.size	_ZN2at6native12_GLOBAL__N_143conv_depthwise3d_cuda_backward_input_kernelIN3c108BFloat16EfLi3ELi3ELi3ELi1ELi1ELi1ELin1ELin1ELin1EEEvN5torch10headeronly6detail27GenericPackedTensorAccessorINS7_14TensorAccessorINS3_8ArrayRefIlEEKT_Lm4ENS6_16DefaultPtrTraitsEiEENS_6detail16IndexBoundsCheckILm5EiEESD_Lm5ESE_iEENS8_INS9_ISB_SC_Lm4ESE_iEESI_SC_Lm5ESE_iEESJ_iiiiiiiii, .Lfunc_end28-_ZN2at6native12_GLOBAL__N_143conv_depthwise3d_cuda_backward_input_kernelIN3c108BFloat16EfLi3ELi3ELi3ELi1ELi1ELi1ELin1ELin1ELin1EEEvN5torch10headeronly6detail27GenericPackedTensorAccessorINS7_14TensorAccessorINS3_8ArrayRefIlEEKT_Lm4ENS6_16DefaultPtrTraitsEiEENS_6detail16IndexBoundsCheckILm5EiEESD_Lm5ESE_iEENS8_INS9_ISB_SC_Lm4ESE_iEESI_SC_Lm5ESE_iEESJ_iiiiiiiii
                                        ; -- End function
	.set _ZN2at6native12_GLOBAL__N_143conv_depthwise3d_cuda_backward_input_kernelIN3c108BFloat16EfLi3ELi3ELi3ELi1ELi1ELi1ELin1ELin1ELin1EEEvN5torch10headeronly6detail27GenericPackedTensorAccessorINS7_14TensorAccessorINS3_8ArrayRefIlEEKT_Lm4ENS6_16DefaultPtrTraitsEiEENS_6detail16IndexBoundsCheckILm5EiEESD_Lm5ESE_iEENS8_INS9_ISB_SC_Lm4ESE_iEESI_SC_Lm5ESE_iEESJ_iiiiiiiii.num_vgpr, 64
	.set _ZN2at6native12_GLOBAL__N_143conv_depthwise3d_cuda_backward_input_kernelIN3c108BFloat16EfLi3ELi3ELi3ELi1ELi1ELi1ELin1ELin1ELin1EEEvN5torch10headeronly6detail27GenericPackedTensorAccessorINS7_14TensorAccessorINS3_8ArrayRefIlEEKT_Lm4ENS6_16DefaultPtrTraitsEiEENS_6detail16IndexBoundsCheckILm5EiEESD_Lm5ESE_iEENS8_INS9_ISB_SC_Lm4ESE_iEESI_SC_Lm5ESE_iEESJ_iiiiiiiii.num_agpr, 0
	.set _ZN2at6native12_GLOBAL__N_143conv_depthwise3d_cuda_backward_input_kernelIN3c108BFloat16EfLi3ELi3ELi3ELi1ELi1ELi1ELin1ELin1ELin1EEEvN5torch10headeronly6detail27GenericPackedTensorAccessorINS7_14TensorAccessorINS3_8ArrayRefIlEEKT_Lm4ENS6_16DefaultPtrTraitsEiEENS_6detail16IndexBoundsCheckILm5EiEESD_Lm5ESE_iEENS8_INS9_ISB_SC_Lm4ESE_iEESI_SC_Lm5ESE_iEESJ_iiiiiiiii.numbered_sgpr, 100
	.set _ZN2at6native12_GLOBAL__N_143conv_depthwise3d_cuda_backward_input_kernelIN3c108BFloat16EfLi3ELi3ELi3ELi1ELi1ELi1ELin1ELin1ELin1EEEvN5torch10headeronly6detail27GenericPackedTensorAccessorINS7_14TensorAccessorINS3_8ArrayRefIlEEKT_Lm4ENS6_16DefaultPtrTraitsEiEENS_6detail16IndexBoundsCheckILm5EiEESD_Lm5ESE_iEENS8_INS9_ISB_SC_Lm4ESE_iEESI_SC_Lm5ESE_iEESJ_iiiiiiiii.num_named_barrier, 0
	.set _ZN2at6native12_GLOBAL__N_143conv_depthwise3d_cuda_backward_input_kernelIN3c108BFloat16EfLi3ELi3ELi3ELi1ELi1ELi1ELin1ELin1ELin1EEEvN5torch10headeronly6detail27GenericPackedTensorAccessorINS7_14TensorAccessorINS3_8ArrayRefIlEEKT_Lm4ENS6_16DefaultPtrTraitsEiEENS_6detail16IndexBoundsCheckILm5EiEESD_Lm5ESE_iEENS8_INS9_ISB_SC_Lm4ESE_iEESI_SC_Lm5ESE_iEESJ_iiiiiiiii.private_seg_size, 288
	.set _ZN2at6native12_GLOBAL__N_143conv_depthwise3d_cuda_backward_input_kernelIN3c108BFloat16EfLi3ELi3ELi3ELi1ELi1ELi1ELin1ELin1ELin1EEEvN5torch10headeronly6detail27GenericPackedTensorAccessorINS7_14TensorAccessorINS3_8ArrayRefIlEEKT_Lm4ENS6_16DefaultPtrTraitsEiEENS_6detail16IndexBoundsCheckILm5EiEESD_Lm5ESE_iEENS8_INS9_ISB_SC_Lm4ESE_iEESI_SC_Lm5ESE_iEESJ_iiiiiiiii.uses_vcc, 1
	.set _ZN2at6native12_GLOBAL__N_143conv_depthwise3d_cuda_backward_input_kernelIN3c108BFloat16EfLi3ELi3ELi3ELi1ELi1ELi1ELin1ELin1ELin1EEEvN5torch10headeronly6detail27GenericPackedTensorAccessorINS7_14TensorAccessorINS3_8ArrayRefIlEEKT_Lm4ENS6_16DefaultPtrTraitsEiEENS_6detail16IndexBoundsCheckILm5EiEESD_Lm5ESE_iEENS8_INS9_ISB_SC_Lm4ESE_iEESI_SC_Lm5ESE_iEESJ_iiiiiiiii.uses_flat_scratch, 0
	.set _ZN2at6native12_GLOBAL__N_143conv_depthwise3d_cuda_backward_input_kernelIN3c108BFloat16EfLi3ELi3ELi3ELi1ELi1ELi1ELin1ELin1ELin1EEEvN5torch10headeronly6detail27GenericPackedTensorAccessorINS7_14TensorAccessorINS3_8ArrayRefIlEEKT_Lm4ENS6_16DefaultPtrTraitsEiEENS_6detail16IndexBoundsCheckILm5EiEESD_Lm5ESE_iEENS8_INS9_ISB_SC_Lm4ESE_iEESI_SC_Lm5ESE_iEESJ_iiiiiiiii.has_dyn_sized_stack, 0
	.set _ZN2at6native12_GLOBAL__N_143conv_depthwise3d_cuda_backward_input_kernelIN3c108BFloat16EfLi3ELi3ELi3ELi1ELi1ELi1ELin1ELin1ELin1EEEvN5torch10headeronly6detail27GenericPackedTensorAccessorINS7_14TensorAccessorINS3_8ArrayRefIlEEKT_Lm4ENS6_16DefaultPtrTraitsEiEENS_6detail16IndexBoundsCheckILm5EiEESD_Lm5ESE_iEENS8_INS9_ISB_SC_Lm4ESE_iEESI_SC_Lm5ESE_iEESJ_iiiiiiiii.has_recursion, 0
	.set _ZN2at6native12_GLOBAL__N_143conv_depthwise3d_cuda_backward_input_kernelIN3c108BFloat16EfLi3ELi3ELi3ELi1ELi1ELi1ELin1ELin1ELin1EEEvN5torch10headeronly6detail27GenericPackedTensorAccessorINS7_14TensorAccessorINS3_8ArrayRefIlEEKT_Lm4ENS6_16DefaultPtrTraitsEiEENS_6detail16IndexBoundsCheckILm5EiEESD_Lm5ESE_iEENS8_INS9_ISB_SC_Lm4ESE_iEESI_SC_Lm5ESE_iEESJ_iiiiiiiii.has_indirect_call, 0
	.section	.AMDGPU.csdata,"",@progbits
; Kernel info:
; codeLenInByte = 9004
; TotalNumSgprs: 104
; NumVgprs: 64
; ScratchSize: 288
; MemoryBound: 0
; FloatMode: 240
; IeeeMode: 1
; LDSByteSize: 0 bytes/workgroup (compile time only)
; SGPRBlocks: 12
; VGPRBlocks: 15
; NumSGPRsForWavesPerEU: 104
; NumVGPRsForWavesPerEU: 64
; Occupancy: 4
; WaveLimiterHint : 0
; COMPUTE_PGM_RSRC2:SCRATCH_EN: 1
; COMPUTE_PGM_RSRC2:USER_SGPR: 6
; COMPUTE_PGM_RSRC2:TRAP_HANDLER: 0
; COMPUTE_PGM_RSRC2:TGID_X_EN: 1
; COMPUTE_PGM_RSRC2:TGID_Y_EN: 0
; COMPUTE_PGM_RSRC2:TGID_Z_EN: 0
; COMPUTE_PGM_RSRC2:TIDIG_COMP_CNT: 0
	.section	.text._ZN2at6native12_GLOBAL__N_143conv_depthwise3d_cuda_backward_input_kernelIN3c108BFloat16EfLi3ELi3ELi3ELin1ELin1ELin1ELi1ELi1ELi1EEEvN5torch10headeronly6detail27GenericPackedTensorAccessorINS7_14TensorAccessorINS3_8ArrayRefIlEEKT_Lm4ENS6_16DefaultPtrTraitsEiEENS_6detail16IndexBoundsCheckILm5EiEESD_Lm5ESE_iEENS8_INS9_ISB_SC_Lm4ESE_iEESI_SC_Lm5ESE_iEESJ_iiiiiiiii,"axG",@progbits,_ZN2at6native12_GLOBAL__N_143conv_depthwise3d_cuda_backward_input_kernelIN3c108BFloat16EfLi3ELi3ELi3ELin1ELin1ELin1ELi1ELi1ELi1EEEvN5torch10headeronly6detail27GenericPackedTensorAccessorINS7_14TensorAccessorINS3_8ArrayRefIlEEKT_Lm4ENS6_16DefaultPtrTraitsEiEENS_6detail16IndexBoundsCheckILm5EiEESD_Lm5ESE_iEENS8_INS9_ISB_SC_Lm4ESE_iEESI_SC_Lm5ESE_iEESJ_iiiiiiiii,comdat
	.globl	_ZN2at6native12_GLOBAL__N_143conv_depthwise3d_cuda_backward_input_kernelIN3c108BFloat16EfLi3ELi3ELi3ELin1ELin1ELin1ELi1ELi1ELi1EEEvN5torch10headeronly6detail27GenericPackedTensorAccessorINS7_14TensorAccessorINS3_8ArrayRefIlEEKT_Lm4ENS6_16DefaultPtrTraitsEiEENS_6detail16IndexBoundsCheckILm5EiEESD_Lm5ESE_iEENS8_INS9_ISB_SC_Lm4ESE_iEESI_SC_Lm5ESE_iEESJ_iiiiiiiii ; -- Begin function _ZN2at6native12_GLOBAL__N_143conv_depthwise3d_cuda_backward_input_kernelIN3c108BFloat16EfLi3ELi3ELi3ELin1ELin1ELin1ELi1ELi1ELi1EEEvN5torch10headeronly6detail27GenericPackedTensorAccessorINS7_14TensorAccessorINS3_8ArrayRefIlEEKT_Lm4ENS6_16DefaultPtrTraitsEiEENS_6detail16IndexBoundsCheckILm5EiEESD_Lm5ESE_iEENS8_INS9_ISB_SC_Lm4ESE_iEESI_SC_Lm5ESE_iEESJ_iiiiiiiii
	.p2align	8
	.type	_ZN2at6native12_GLOBAL__N_143conv_depthwise3d_cuda_backward_input_kernelIN3c108BFloat16EfLi3ELi3ELi3ELin1ELin1ELin1ELi1ELi1ELi1EEEvN5torch10headeronly6detail27GenericPackedTensorAccessorINS7_14TensorAccessorINS3_8ArrayRefIlEEKT_Lm4ENS6_16DefaultPtrTraitsEiEENS_6detail16IndexBoundsCheckILm5EiEESD_Lm5ESE_iEENS8_INS9_ISB_SC_Lm4ESE_iEESI_SC_Lm5ESE_iEESJ_iiiiiiiii,@function
_ZN2at6native12_GLOBAL__N_143conv_depthwise3d_cuda_backward_input_kernelIN3c108BFloat16EfLi3ELi3ELi3ELin1ELin1ELin1ELi1ELi1ELi1EEEvN5torch10headeronly6detail27GenericPackedTensorAccessorINS7_14TensorAccessorINS3_8ArrayRefIlEEKT_Lm4ENS6_16DefaultPtrTraitsEiEENS_6detail16IndexBoundsCheckILm5EiEESD_Lm5ESE_iEENS8_INS9_ISB_SC_Lm4ESE_iEESI_SC_Lm5ESE_iEESJ_iiiiiiiii: ; @_ZN2at6native12_GLOBAL__N_143conv_depthwise3d_cuda_backward_input_kernelIN3c108BFloat16EfLi3ELi3ELi3ELin1ELin1ELin1ELi1ELi1ELi1EEEvN5torch10headeronly6detail27GenericPackedTensorAccessorINS7_14TensorAccessorINS3_8ArrayRefIlEEKT_Lm4ENS6_16DefaultPtrTraitsEiEENS_6detail16IndexBoundsCheckILm5EiEESD_Lm5ESE_iEENS8_INS9_ISB_SC_Lm4ESE_iEESI_SC_Lm5ESE_iEESJ_iiiiiiiii
; %bb.0:
	s_load_dwordx4 s[28:31], s[4:5], 0x38
	s_load_dwordx2 s[34:35], s[4:5], 0x48
	s_mov_b64 s[98:99], s[2:3]
	s_mov_b64 s[96:97], s[0:1]
	s_add_u32 s96, s96, s7
	s_addc_u32 s97, s97, 0
	s_waitcnt lgkmcnt(0)
	s_abs_i32 s33, s29
	v_cvt_f32_u32_e32 v2, s33
	s_load_dword s2, s[4:5], 0xc4
	s_add_u32 s0, s4, 0xb8
	v_mov_b32_e32 v1, 0
	v_rcp_iflag_f32_e32 v2, v2
	v_mov_b32_e32 v3, s6
	s_addc_u32 s1, s5, 0
	s_waitcnt lgkmcnt(0)
	s_and_b32 s2, s2, 0xffff
	v_mul_f32_e32 v2, 0x4f7ffffe, v2
	v_mad_u64_u32 v[9:10], s[6:7], s2, v3, v[0:1]
	v_cvt_u32_f32_e32 v0, v2
	s_mul_i32 s6, s35, s28
	s_ashr_i32 s7, s6, 31
                                        ; implicit-def: $vgpr63 : SGPR spill to VGPR lane
	v_writelane_b32 v63, s6, 0
	v_cmp_gt_i64_e32 vcc, s[6:7], v[9:10]
	v_writelane_b32 v63, s7, 1
	v_readfirstlane_b32 s3, v0
	s_and_saveexec_b64 s[6:7], vcc
	s_cbranch_execz .LBB29_62
; %bb.1:
	s_load_dwordx4 s[36:39], s[4:5], 0xc
	s_load_dwordx2 s[8:9], s[4:5], 0x0
	s_sub_i32 s6, 0, s33
	s_ashr_i32 s10, s29, 31
	s_load_dwordx2 s[52:53], s[4:5], 0xac
	s_waitcnt lgkmcnt(0)
	s_ashr_i32 s7, s36, 31
	v_writelane_b32 v63, s8, 2
	v_writelane_b32 v63, s9, 3
	s_mul_i32 s9, s6, s3
	s_mul_hi_u32 s9, s3, s9
	s_abs_i32 s8, s36
	s_add_i32 s3, s3, s9
	s_mul_hi_u32 s3, s8, s3
	s_mul_i32 s9, s3, s33
	s_sub_i32 s8, s8, s9
	v_writelane_b32 v63, s10, 4
	s_xor_b32 s7, s7, s10
	s_add_i32 s9, s3, 1
	s_sub_i32 s10, s8, s33
	s_cmp_ge_u32 s8, s33
	s_cselect_b32 s3, s9, s3
	s_cselect_b32 s8, s10, s8
	s_add_i32 s9, s3, 1
	s_cmp_ge_u32 s8, s33
	s_cselect_b32 s3, s9, s3
	s_xor_b32 s3, s3, s7
	s_sub_i32 s36, s3, s7
	s_cmp_gt_i32 s36, 0
	s_load_dword s3, s[0:1], 0x0
	s_cselect_b64 s[0:1], -1, 0
	s_abs_i32 s28, s34
	v_cvt_f32_u32_e32 v1, s28
	s_load_dwordx4 s[40:43], s[4:5], 0x9c
	s_load_dword s7, s[4:5], 0x7c
	s_load_dwordx2 s[8:9], s[4:5], 0x60
	s_load_dwordx4 s[44:47], s[4:5], 0x50
	v_rcp_iflag_f32_e32 v1, v1
	s_waitcnt lgkmcnt(0)
	s_mul_i32 s2, s3, s2
	v_writelane_b32 v63, s7, 5
	v_writelane_b32 v63, s8, 6
	;; [unrolled: 1-line block ×3, first 2 shown]
	v_mul_f32_e32 v1, 0x4f7ffffe, v1
	v_writelane_b32 v63, s2, 8
	s_lshl_b32 s2, s53, 1
	v_cvt_u32_f32_e32 v1, v1
	v_writelane_b32 v63, s2, 9
	s_lshl_b32 s2, s52, 1
	v_writelane_b32 v63, s2, 10
	s_lshl_b32 s2, s43, 1
	v_writelane_b32 v63, s2, 11
	s_sub_i32 s2, 0, s28
	v_mul_lo_u32 v2, s2, v1
	s_abs_i32 s50, s31
	v_cvt_f32_u32_e32 v3, s50
	s_abs_i32 s51, s30
	v_cvt_f32_u32_e32 v4, s51
	v_mul_hi_u32 v2, v1, v2
	v_rcp_iflag_f32_e32 v3, v3
	s_load_dwordx2 s[54:55], s[4:5], 0x1c
	s_load_dwordx2 s[56:57], s[4:5], 0x30
	v_rcp_iflag_f32_e32 v4, v4
	v_add_u32_e32 v1, v1, v2
	buffer_store_dword v1, off, s[96:99], 0 offset:256 ; 4-byte Folded Spill
	v_mul_f32_e32 v1, 0x4f7ffffe, v3
	v_cvt_u32_f32_e32 v1, v1
	v_mul_f32_e32 v2, 0x4f7ffffe, v4
	v_cvt_u32_f32_e32 v2, v2
	v_mul_lo_u32 v5, s6, v0
	s_ashr_i32 s2, s34, 31
	v_writelane_b32 v63, s2, 12
	s_sub_i32 s2, 0, s50
	v_mul_lo_u32 v3, s2, v1
	s_sub_i32 s2, 0, s51
	v_mul_lo_u32 v4, s2, v2
	v_mul_hi_u32 v5, v0, v5
	v_mul_hi_u32 v3, v1, v3
	s_ashr_i32 s2, s31, 31
	v_mul_hi_u32 v4, v2, v4
	v_add_u32_e32 v0, v0, v5
	v_writelane_b32 v63, s2, 13
	s_ashr_i32 s2, s30, 31
	buffer_store_dword v0, off, s[96:99], 0 offset:268 ; 4-byte Folded Spill
	v_cndmask_b32_e64 v0, 0, 1, s[0:1]
	v_writelane_b32 v63, s2, 14
	v_cmp_ne_u32_e64 s[0:1], 1, v0
	v_add_u32_e32 v1, v1, v3
	v_writelane_b32 v63, s0, 15
	buffer_store_dword v1, off, s[96:99], 0 offset:260 ; 4-byte Folded Spill
	v_add_u32_e32 v1, v2, v4
	s_mov_b64 s[60:61], 0
	v_writelane_b32 v63, s1, 16
                                        ; kill: killed $sgpr4 killed $sgpr5
	buffer_store_dword v1, off, s[96:99], 0 offset:264 ; 4-byte Folded Spill
	s_branch .LBB29_4
.LBB29_2:                               ;   in Loop: Header=BB29_4 Depth=1
	s_or_b64 exec, exec, s[10:11]
	buffer_load_dword v9, off, s[96:99], 0 offset:228 ; 4-byte Folded Reload
	buffer_load_dword v10, off, s[96:99], 0 offset:232 ; 4-byte Folded Reload
	;; [unrolled: 1-line block ×7, first 2 shown]
.LBB29_3:                               ;   in Loop: Header=BB29_4 Depth=1
	v_bfe_u32 v1, v0, 16, 1
	s_movk_i32 s0, 0x7fff
	v_add3_u32 v2, v0, v1, s0
	s_waitcnt vmcnt(0)
	v_mul_lo_u32 v1, v23, s35
	v_cmp_o_f32_e32 vcc, v0, v0
	v_mov_b32_e32 v0, 0x7fc0
	v_cndmask_b32_sdwa v4, v0, v2, vcc dst_sel:DWORD dst_unused:UNUSED_PAD src0_sel:DWORD src1_sel:WORD_1
	v_ashrrev_i32_e32 v2, 31, v1
	v_lshlrev_b64 v[0:1], 1, v[1:2]
	v_mul_lo_u32 v2, s44, v57
	s_waitcnt lgkmcnt(0)
	v_mov_b32_e32 v3, s57
	v_add_co_u32_e32 v5, vcc, s56, v0
	v_addc_co_u32_e32 v6, vcc, v3, v1, vcc
	v_ashrrev_i32_e32 v3, 31, v2
	v_lshlrev_b64 v[0:1], 1, v[2:3]
	v_mul_lo_u32 v2, s45, v7
	v_add_co_u32_e32 v5, vcc, v5, v0
	v_addc_co_u32_e32 v6, vcc, v6, v1, vcc
	v_ashrrev_i32_e32 v3, 31, v2
	v_lshlrev_b64 v[0:1], 1, v[2:3]
	v_mul_lo_u32 v2, s46, v8
	;; [unrolled: 5-line block ×3, first 2 shown]
	v_add_co_u32_e32 v5, vcc, v5, v0
	v_addc_co_u32_e32 v6, vcc, v6, v1, vcc
	v_readlane_b32 s0, v63, 8
	v_ashrrev_i32_e32 v3, 31, v2
	v_add_co_u32_e32 v9, vcc, s0, v9
	v_readlane_b32 s0, v63, 0
	v_lshlrev_b64 v[0:1], 1, v[2:3]
	v_addc_co_u32_e32 v10, vcc, 0, v10, vcc
	v_readlane_b32 s1, v63, 1
	v_cmp_le_i64_e32 vcc, s[0:1], v[9:10]
	v_add_co_u32_e64 v0, s[2:3], v5, v0
	v_addc_co_u32_e64 v1, s[2:3], v6, v1, s[2:3]
	s_or_b64 s[60:61], vcc, s[60:61]
	global_store_short v[0:1], v4, off
	s_andn2_b64 exec, exec, s[60:61]
	s_cbranch_execz .LBB29_62
.LBB29_4:                               ; =>This Loop Header: Depth=1
                                        ;     Child Loop BB29_7 Depth 2
	buffer_load_dword v1, off, s[96:99], 0 offset:256 ; 4-byte Folded Reload
	v_sub_u32_e32 v0, 0, v9
	v_max_i32_e32 v0, v9, v0
	v_ashrrev_i32_e32 v3, 31, v9
	v_readlane_b32 s0, v63, 12
	v_xor_b32_e32 v3, s0, v3
	v_readlane_b32 s0, v63, 13
	s_waitcnt vmcnt(0)
	v_mul_hi_u32 v1, v0, v1
	v_mul_lo_u32 v2, v1, s28
	v_add_u32_e32 v4, 1, v1
	v_sub_u32_e32 v0, v0, v2
	v_cmp_le_u32_e32 vcc, s28, v0
	v_subrev_u32_e32 v2, s28, v0
	v_cndmask_b32_e32 v1, v1, v4, vcc
	v_cndmask_b32_e32 v0, v0, v2, vcc
	v_add_u32_e32 v2, 1, v1
	v_cmp_le_u32_e32 vcc, s28, v0
	v_cndmask_b32_e32 v0, v1, v2, vcc
	buffer_load_dword v2, off, s[96:99], 0 offset:260 ; 4-byte Folded Reload
	v_xor_b32_e32 v0, v0, v3
	v_sub_u32_e32 v0, v0, v3
	v_sub_u32_e32 v1, 0, v0
	v_max_i32_e32 v1, v0, v1
	v_ashrrev_i32_e32 v4, 31, v0
	v_xor_b32_e32 v4, s0, v4
	v_readlane_b32 s0, v63, 14
	s_waitcnt vmcnt(0)
	v_mul_hi_u32 v2, v1, v2
	v_mul_lo_u32 v3, v2, s50
	v_add_u32_e32 v5, 1, v2
	v_sub_u32_e32 v1, v1, v3
	v_cmp_le_u32_e32 vcc, s50, v1
	v_subrev_u32_e32 v3, s50, v1
	v_cndmask_b32_e32 v2, v2, v5, vcc
	v_cndmask_b32_e32 v1, v1, v3, vcc
	v_add_u32_e32 v3, 1, v2
	v_cmp_le_u32_e32 vcc, s50, v1
	v_cndmask_b32_e32 v1, v2, v3, vcc
	buffer_load_dword v3, off, s[96:99], 0 offset:264 ; 4-byte Folded Reload
	v_xor_b32_e32 v1, v1, v4
	v_sub_u32_e32 v1, v1, v4
	v_sub_u32_e32 v2, 0, v1
	v_max_i32_e32 v2, v1, v2
	v_ashrrev_i32_e32 v6, 31, v1
	v_xor_b32_e32 v6, s0, v6
	v_mul_lo_u32 v4, v0, s34
	v_readlane_b32 s0, v63, 4
	v_sub_u32_e32 v11, v9, v4
	v_mul_lo_u32 v4, v1, s31
	s_waitcnt vmcnt(0)
	v_mul_hi_u32 v3, v2, v3
	v_mul_lo_u32 v5, v3, s51
	v_add_u32_e32 v7, 1, v3
	v_sub_u32_e32 v2, v2, v5
	v_cmp_le_u32_e32 vcc, s51, v2
	v_subrev_u32_e32 v5, s51, v2
	v_cndmask_b32_e32 v3, v3, v7, vcc
	v_cndmask_b32_e32 v2, v2, v5, vcc
	v_add_u32_e32 v5, 1, v3
	v_cmp_le_u32_e32 vcc, s51, v2
	v_cndmask_b32_e32 v2, v3, v5, vcc
	buffer_load_dword v5, off, s[96:99], 0 offset:268 ; 4-byte Folded Reload
	v_xor_b32_e32 v2, v2, v6
	v_sub_u32_e32 v2, v2, v6
	v_sub_u32_e32 v3, 0, v2
	v_max_i32_e32 v3, v2, v3
	v_ashrrev_i32_e32 v8, 31, v2
	v_xor_b32_e32 v8, s0, v8
	v_mul_lo_u32 v7, v2, s30
	v_readlane_b32 s0, v63, 15
	v_readlane_b32 s1, v63, 16
	v_sub_u32_e32 v7, v1, v7
	s_waitcnt vmcnt(0)
	v_mul_hi_u32 v5, v3, v5
	v_mul_lo_u32 v6, v5, s33
	v_sub_u32_e32 v3, v3, v6
	v_add_u32_e32 v6, 1, v5
	v_cmp_le_u32_e32 vcc, s33, v3
	v_cndmask_b32_e32 v5, v5, v6, vcc
	v_subrev_u32_e32 v6, s33, v3
	v_cndmask_b32_e32 v3, v3, v6, vcc
	v_add_u32_e32 v6, 1, v5
	v_cmp_le_u32_e32 vcc, s33, v3
	v_cndmask_b32_e32 v3, v5, v6, vcc
	v_xor_b32_e32 v3, v3, v8
	v_sub_u32_e32 v23, v3, v8
	v_mul_lo_u32 v3, v23, s29
	v_sub_u32_e32 v8, v0, v4
	s_and_b64 vcc, exec, s[0:1]
	v_sub_u32_e32 v57, v2, v3
	s_cbranch_vccnz .LBB29_61
; %bb.5:                                ;   in Loop: Header=BB29_4 Depth=1
	v_add_u32_e32 v5, s41, v8
	v_add_u32_e32 v0, s42, v11
	;; [unrolled: 1-line block ×3, first 2 shown]
	v_or_b32_e32 v3, v0, v5
	v_readlane_b32 s0, v63, 10
	v_or_b32_e32 v1, v3, v2
	buffer_store_dword v9, off, s[96:99], 0 offset:228 ; 4-byte Folded Spill
	s_nop 0
	buffer_store_dword v10, off, s[96:99], 0 offset:232 ; 4-byte Folded Spill
	buffer_store_dword v7, off, s[96:99], 0 offset:244 ; 4-byte Folded Spill
	v_subrev_u32_e32 v7, s0, v5
	v_cmp_lt_i32_e32 vcc, -1, v1
	v_subrev_u32_e32 v1, s53, v0
	v_readlane_b32 s0, v63, 9
	v_or_b32_e32 v16, v1, v5
	v_subrev_u32_e32 v20, s0, v0
	v_subrev_u32_e32 v9, s52, v5
	v_or_b32_e32 v4, v16, v2
	v_or_b32_e32 v18, v20, v5
	v_cmp_gt_i32_e64 s[20:21], s38, v5
	v_cmp_gt_i32_e64 s[22:23], s39, v0
	;; [unrolled: 1-line block ×4, first 2 shown]
	buffer_store_dword v8, off, s[96:99], 0 offset:240 ; 4-byte Folded Spill
	v_or_b32_e32 v8, v0, v9
	v_cmp_lt_i32_e64 s[2:3], -1, v4
	v_or_b32_e32 v4, v18, v2
	s_and_b64 s[88:89], s[22:23], s[20:21]
	s_and_b64 s[86:87], s[24:25], s[20:21]
	s_and_b64 s[84:85], s[26:27], s[20:21]
	v_cmp_gt_i32_e64 s[20:21], s38, v9
	v_or_b32_e32 v14, v1, v9
	v_cmp_lt_i32_e64 s[4:5], -1, v4
	v_or_b32_e32 v4, v8, v2
	s_and_b64 s[82:83], s[22:23], s[20:21]
	s_and_b64 s[90:91], s[24:25], s[20:21]
	s_and_b64 s[48:49], s[26:27], s[20:21]
	v_cmp_gt_i32_e64 s[20:21], s38, v7
	;; [unrolled: 7-line block ×3, first 2 shown]
	s_and_b64 s[2:3], s[86:87], s[2:3]
	buffer_store_dword v11, off, s[96:99], 0 offset:236 ; 4-byte Folded Spill
	v_or_b32_e32 v11, v0, v7
	v_cmp_lt_i32_e64 s[8:9], -1, v4
	v_or_b32_e32 v4, v17, v2
	s_and_b64 s[24:25], s[2:3], s[20:21]
	s_and_b64 s[2:3], s[84:85], s[4:5]
	v_cmp_lt_i32_e64 s[10:11], -1, v4
	v_or_b32_e32 v4, v11, v2
	v_or_b32_e32 v13, v1, v7
	s_and_b64 s[26:27], s[2:3], s[20:21]
	s_and_b64 s[2:3], s[82:83], s[6:7]
	v_cmp_lt_i32_e64 s[12:13], -1, v4
	v_or_b32_e32 v4, v13, v2
	;; [unrolled: 5-line block ×3, first 2 shown]
	v_subrev_u32_e32 v19, s43, v2
	s_and_b64 s[64:65], s[2:3], s[20:21]
	s_and_b64 s[2:3], s[48:49], s[10:11]
	v_cmp_lt_i32_e64 s[16:17], -1, v4
	v_or_b32_e32 v4, v3, v19
	s_and_b64 s[66:67], s[2:3], s[20:21]
	s_and_b64 s[2:3], s[0:1], s[12:13]
	v_cmp_lt_i32_e64 s[18:19], -1, v4
	s_and_b64 s[12:13], s[2:3], s[20:21]
	s_and_b64 s[2:3], s[94:95], s[14:15]
	v_or_b32_e32 v4, v16, v19
	s_and_b64 s[22:23], s[88:89], vcc
	s_and_b64 s[14:15], s[2:3], s[20:21]
	s_and_b64 s[2:3], s[92:93], s[16:17]
	v_cmp_lt_i32_e32 vcc, -1, v4
	v_or_b32_e32 v4, v18, v19
	s_and_b64 s[16:17], s[2:3], s[20:21]
	v_or_b32_e32 v6, v8, v19
	v_cmp_lt_i32_e64 s[2:3], -1, v4
	v_cmp_gt_i32_e64 s[4:5], s37, v19
	s_and_b64 s[6:7], s[88:89], s[18:19]
	v_or_b32_e32 v10, v14, v19
	s_and_b64 s[18:19], s[6:7], s[4:5]
	s_and_b64 s[6:7], s[86:87], vcc
	s_and_b64 s[2:3], s[84:85], s[2:3]
	v_cmp_lt_i32_e32 vcc, -1, v6
	v_or_b32_e32 v4, v17, v19
	s_and_b64 s[68:69], s[2:3], s[4:5]
	s_and_b64 s[2:3], s[82:83], vcc
	v_cmp_lt_i32_e32 vcc, -1, v10
	v_or_b32_e32 v12, v11, v19
	s_and_b64 s[70:71], s[2:3], s[4:5]
	s_and_b64 s[2:3], s[90:91], vcc
	;; [unrolled: 4-line block ×4, first 2 shown]
	v_cmp_lt_i32_e32 vcc, -1, v21
	s_and_b64 s[76:77], s[2:3], s[4:5]
	s_and_b64 s[2:3], s[94:95], vcc
	v_cmp_lt_i32_e32 vcc, -1, v22
	v_mul_lo_u32 v60, v57, s36
	s_and_b64 s[78:79], s[2:3], s[4:5]
	s_and_b64 s[2:3], s[92:93], vcc
	s_and_b64 s[80:81], s[2:3], s[4:5]
	v_readlane_b32 s2, v63, 11
	v_mul_lo_u32 v26, v2, s38
	v_subrev_u32_e32 v21, s2, v2
	v_readlane_b32 s2, v63, 5
	v_mul_lo_u32 v2, s2, v60
	v_or_b32_e32 v3, v3, v21
	v_cmp_lt_i32_e32 vcc, -1, v3
	v_add_u32_e32 v3, v5, v26
	s_waitcnt lgkmcnt(0)
	v_mul_lo_u32 v22, s54, v23
	v_mul_lo_u32 v27, v3, s39
	v_add_u32_e32 v3, v9, v26
	v_mul_lo_u32 v28, v3, s39
	v_ashrrev_i32_e32 v3, 31, v2
	s_and_b64 s[22:23], s[22:23], s[20:21]
	s_and_b64 s[20:21], s[6:7], s[4:5]
	v_readlane_b32 s4, v63, 6
	v_lshlrev_b64 v[2:3], 1, v[2:3]
	v_readlane_b32 s5, v63, 7
	buffer_store_dword v23, off, s[96:99], 0 offset:252 ; 4-byte Folded Spill
	v_ashrrev_i32_e32 v23, 31, v22
	s_and_b64 s[10:11], s[88:89], vcc
	v_mov_b32_e32 v12, s5
	v_readlane_b32 s2, v63, 2
	v_add_co_u32_e32 v2, vcc, s4, v2
	v_lshlrev_b64 v[24:25], 1, v[22:23]
	v_mul_lo_u32 v19, v19, s38
	v_or_b32_e32 v42, v15, v21
	v_mul_lo_u32 v15, v21, s38
	v_readlane_b32 s3, v63, 3
	v_addc_co_u32_e32 v3, vcc, v12, v3, vcc
	v_mov_b32_e32 v29, s3
	v_add_u32_e32 v22, v7, v26
	v_add_co_u32_e32 v61, vcc, s2, v24
	v_mul_lo_u32 v23, v22, s39
	v_addc_co_u32_e32 v22, vcc, v29, v25, vcc
	v_add_u32_e32 v4, v0, v27
	buffer_store_dword v22, off, s[96:99], 0 offset:4 ; 4-byte Folded Spill
	v_or_b32_e32 v22, v16, v21
	v_add_u32_e32 v24, v5, v19
	v_add_u32_e32 v5, v5, v15
	v_cmp_lt_i32_e64 s[2:3], -1, v22
	v_or_b32_e32 v22, v18, v21
	v_or_b32_e32 v17, v17, v21
	v_mul_lo_u32 v46, v5, s39
	v_ashrrev_i32_e32 v5, 31, v4
	v_cmp_lt_i32_e64 s[6:7], -1, v22
	s_and_b64 s[86:87], s[86:87], s[2:3]
	v_cmp_lt_i32_e64 s[2:3], -1, v17
	v_add_u32_e32 v17, v7, v19
	v_lshlrev_b64 v[4:5], 1, v[4:5]
	v_add_u32_e32 v6, v1, v27
	v_mul_lo_u32 v25, v24, s39
	v_or_b32_e32 v24, v8, v21
	v_or_b32_e32 v14, v14, v21
	v_add_u32_e32 v26, v9, v19
	v_or_b32_e32 v11, v11, v21
	v_or_b32_e32 v13, v13, v21
	s_and_b64 s[88:89], s[84:85], s[6:7]
	v_cmp_gt_i32_e64 s[6:7], s37, v21
	v_add_u32_e32 v21, v9, v15
	v_mul_lo_u32 v9, v17, s39
	v_add_u32_e32 v52, v7, v15
	v_ashrrev_i32_e32 v7, 31, v6
	buffer_store_dword v4, off, s[96:99], 0 offset:12 ; 4-byte Folded Spill
	s_nop 0
	buffer_store_dword v5, off, s[96:99], 0 offset:16 ; 4-byte Folded Spill
	v_lshlrev_b64 v[4:5], 1, v[6:7]
	v_add_u32_e32 v8, v20, v27
	v_add_u32_e32 v34, v0, v9
	;; [unrolled: 1-line block ×4, first 2 shown]
	v_ashrrev_i32_e32 v9, 31, v8
	buffer_store_dword v4, off, s[96:99], 0 offset:20 ; 4-byte Folded Spill
	s_nop 0
	buffer_store_dword v5, off, s[96:99], 0 offset:24 ; 4-byte Folded Spill
	v_lshlrev_b64 v[4:5], 1, v[8:9]
	v_add_u32_e32 v10, v0, v28
	v_cmp_lt_i32_e64 s[4:5], -1, v24
	s_and_b64 s[58:59], s[82:83], s[4:5]
	v_cmp_lt_i32_e64 s[4:5], -1, v11
	v_ashrrev_i32_e32 v11, 31, v10
	buffer_store_dword v4, off, s[96:99], 0 offset:28 ; 4-byte Folded Spill
	s_nop 0
	buffer_store_dword v5, off, s[96:99], 0 offset:32 ; 4-byte Folded Spill
	v_lshlrev_b64 v[4:5], 1, v[10:11]
	v_add_u32_e32 v12, v1, v28
	v_cmp_lt_i32_e64 s[8:9], -1, v13
	v_ashrrev_i32_e32 v13, 31, v12
	buffer_store_dword v4, off, s[96:99], 0 offset:36 ; 4-byte Folded Spill
	s_nop 0
	buffer_store_dword v5, off, s[96:99], 0 offset:40 ; 4-byte Folded Spill
	v_lshlrev_b64 v[4:5], 1, v[12:13]
	v_cmp_lt_i32_e32 vcc, -1, v14
	v_add_u32_e32 v14, v20, v28
	v_ashrrev_i32_e32 v15, 31, v14
	buffer_store_dword v4, off, s[96:99], 0 offset:44 ; 4-byte Folded Spill
	s_nop 0
	buffer_store_dword v5, off, s[96:99], 0 offset:48 ; 4-byte Folded Spill
	v_lshlrev_b64 v[4:5], 1, v[14:15]
	v_add_u32_e32 v16, v0, v23
	v_ashrrev_i32_e32 v17, 31, v16
	buffer_store_dword v4, off, s[96:99], 0 offset:52 ; 4-byte Folded Spill
	s_nop 0
	buffer_store_dword v5, off, s[96:99], 0 offset:56 ; 4-byte Folded Spill
	v_lshlrev_b64 v[4:5], 1, v[16:17]
	;; [unrolled: 6-line block ×5, first 2 shown]
	v_add_u32_e32 v24, v1, v25
	v_add_u32_e32 v32, v20, v25
	v_ashrrev_i32_e32 v25, 31, v24
	buffer_store_dword v4, off, s[96:99], 0 offset:84 ; 4-byte Folded Spill
	s_nop 0
	buffer_store_dword v5, off, s[96:99], 0 offset:88 ; 4-byte Folded Spill
	v_mul_lo_u32 v27, v26, s39
	v_lshlrev_b64 v[4:5], 1, v[24:25]
	v_ashrrev_i32_e32 v33, 31, v32
	buffer_store_dword v4, off, s[96:99], 0 offset:92 ; 4-byte Folded Spill
	s_nop 0
	buffer_store_dword v5, off, s[96:99], 0 offset:96 ; 4-byte Folded Spill
	v_lshlrev_b64 v[4:5], 1, v[32:33]
	v_add_u32_e32 v28, v0, v27
	v_ashrrev_i32_e32 v29, 31, v28
	buffer_store_dword v4, off, s[96:99], 0 offset:100 ; 4-byte Folded Spill
	s_nop 0
	buffer_store_dword v5, off, s[96:99], 0 offset:104 ; 4-byte Folded Spill
	v_lshlrev_b64 v[4:5], 1, v[28:29]
	v_add_u32_e32 v26, v1, v27
	v_add_u32_e32 v36, v20, v27
	v_ashrrev_i32_e32 v27, 31, v26
	buffer_store_dword v4, off, s[96:99], 0 offset:108 ; 4-byte Folded Spill
	s_nop 0
	buffer_store_dword v5, off, s[96:99], 0 offset:112 ; 4-byte Folded Spill
	v_lshlrev_b64 v[4:5], 1, v[26:27]
	v_ashrrev_i32_e32 v37, 31, v36
	buffer_store_dword v4, off, s[96:99], 0 offset:116 ; 4-byte Folded Spill
	s_nop 0
	buffer_store_dword v5, off, s[96:99], 0 offset:120 ; 4-byte Folded Spill
	v_lshlrev_b64 v[4:5], 1, v[36:37]
	;; [unrolled: 5-line block ×5, first 2 shown]
	s_and_b64 s[82:83], s[10:11], s[6:7]
	v_cmp_lt_i32_e64 s[10:11], -1, v42
	v_add_u32_e32 v42, v0, v46
	v_ashrrev_i32_e32 v43, 31, v42
	buffer_store_dword v4, off, s[96:99], 0 offset:148 ; 4-byte Folded Spill
	s_nop 0
	buffer_store_dword v5, off, s[96:99], 0 offset:152 ; 4-byte Folded Spill
	v_lshlrev_b64 v[4:5], 1, v[42:43]
	v_add_u32_e32 v44, v1, v46
	v_ashrrev_i32_e32 v45, 31, v44
	buffer_store_dword v4, off, s[96:99], 0 offset:156 ; 4-byte Folded Spill
	s_nop 0
	buffer_store_dword v5, off, s[96:99], 0 offset:160 ; 4-byte Folded Spill
	v_mul_lo_u32 v21, v21, s39
	v_lshlrev_b64 v[4:5], 1, v[44:45]
	v_add_u32_e32 v46, v20, v46
	v_ashrrev_i32_e32 v47, 31, v46
	buffer_store_dword v4, off, s[96:99], 0 offset:164 ; 4-byte Folded Spill
	s_nop 0
	buffer_store_dword v5, off, s[96:99], 0 offset:168 ; 4-byte Folded Spill
	v_lshlrev_b64 v[4:5], 1, v[46:47]
	v_add_u32_e32 v48, v0, v21
	v_ashrrev_i32_e32 v49, 31, v48
	buffer_store_dword v4, off, s[96:99], 0 offset:172 ; 4-byte Folded Spill
	s_nop 0
	buffer_store_dword v5, off, s[96:99], 0 offset:176 ; 4-byte Folded Spill
	;; [unrolled: 6-line block ×3, first 2 shown]
	v_mul_lo_u32 v56, v52, s39
	v_lshlrev_b64 v[4:5], 1, v[50:51]
	v_add_u32_e32 v52, v20, v21
	v_ashrrev_i32_e32 v53, 31, v52
	buffer_store_dword v4, off, s[96:99], 0 offset:188 ; 4-byte Folded Spill
	s_nop 0
	buffer_store_dword v5, off, s[96:99], 0 offset:192 ; 4-byte Folded Spill
	v_lshlrev_b64 v[4:5], 1, v[52:53]
	v_add_u32_e32 v54, v0, v56
	v_add_u32_e32 v0, v1, v56
	v_ashrrev_i32_e32 v55, 31, v54
	v_ashrrev_i32_e32 v1, 31, v0
	buffer_store_dword v4, off, s[96:99], 0 offset:196 ; 4-byte Folded Spill
	s_nop 0
	buffer_store_dword v5, off, s[96:99], 0 offset:200 ; 4-byte Folded Spill
	s_and_b64 s[0:1], s[0:1], s[4:5]
	v_lshlrev_b64 v[4:5], 1, v[54:55]
	v_lshlrev_b64 v[0:1], 1, v[0:1]
	s_and_b64 s[4:5], s[0:1], s[6:7]
	s_and_b64 s[0:1], s[94:95], s[8:9]
	v_add_u32_e32 v20, v20, v56
	s_and_b64 s[84:85], s[86:87], s[6:7]
	s_and_b64 s[86:87], s[88:89], s[6:7]
	;; [unrolled: 1-line block ×3, first 2 shown]
	s_and_b64 s[58:59], s[90:91], vcc
	s_and_b64 s[2:3], s[48:49], s[2:3]
	s_and_b64 s[8:9], s[0:1], s[6:7]
	;; [unrolled: 1-line block ×3, first 2 shown]
	v_ashrrev_i32_e32 v21, 31, v20
	buffer_store_dword v4, off, s[96:99], 0 offset:204 ; 4-byte Folded Spill
	s_nop 0
	buffer_store_dword v5, off, s[96:99], 0 offset:208 ; 4-byte Folded Spill
	buffer_store_dword v0, off, s[96:99], 0 offset:212 ; 4-byte Folded Spill
	s_nop 0
	buffer_store_dword v1, off, s[96:99], 0 offset:216 ; 4-byte Folded Spill
	s_and_b64 s[90:91], s[58:59], s[6:7]
	s_and_b64 s[2:3], s[2:3], s[6:7]
	;; [unrolled: 1-line block ×3, first 2 shown]
	v_lshlrev_b64 v[0:1], 1, v[20:21]
	s_mul_i32 s0, s55, s36
	v_mul_lo_u32 v58, s0, v57
	buffer_store_dword v0, off, s[96:99], 0 offset:220 ; 4-byte Folded Spill
	s_nop 0
	buffer_store_dword v1, off, s[96:99], 0 offset:224 ; 4-byte Folded Spill
	v_add_u32_e32 v0, s36, v60
	s_mov_b64 s[10:11], 0
	buffer_store_dword v0, off, s[96:99], 0 offset:8 ; 4-byte Folded Spill
	v_mov_b32_e32 v0, 0
	buffer_store_dword v57, off, s[96:99], 0 offset:248 ; 4-byte Folded Spill
	s_branch .LBB29_7
.LBB29_6:                               ;   in Loop: Header=BB29_7 Depth=2
	s_or_b64 exec, exec, s[0:1]
	buffer_load_dword v4, off, s[96:99], 0  ; 4-byte Folded Reload
	v_add_co_u32_e32 v2, vcc, 54, v2
	v_addc_co_u32_e32 v3, vcc, 0, v3, vcc
	v_add_u32_e32 v60, 1, v60
	v_add_u32_e32 v58, s55, v58
	s_waitcnt vmcnt(0)
	v_lshlrev_b32_e32 v4, 16, v4
	v_fmac_f32_e32 v0, v59, v4
	v_lshlrev_b32_e32 v4, 16, v5
	v_fmac_f32_e32 v0, v7, v4
	v_lshlrev_b32_e32 v4, 16, v1
	buffer_load_dword v1, off, s[96:99], 0 offset:8 ; 4-byte Folded Reload
	v_fmac_f32_e32 v0, v6, v4
	v_lshlrev_b32_e32 v4, 16, v57
	v_fmac_f32_e32 v0, v11, v4
	v_lshlrev_b32_e32 v4, 16, v12
	;; [unrolled: 2-line block ×24, first 2 shown]
	v_fmac_f32_e32 v0, v54, v4
	s_waitcnt vmcnt(0)
	v_cmp_ge_i32_e32 vcc, v60, v1
	s_or_b64 s[10:11], vcc, s[10:11]
	s_andn2_b64 exec, exec, s[10:11]
	s_cbranch_execz .LBB29_2
.LBB29_7:                               ;   Parent Loop BB29_4 Depth=1
                                        ; =>  This Inner Loop Header: Depth=2
	v_ashrrev_i32_e32 v59, 31, v58
	v_lshlrev_b64 v[4:5], 1, v[58:59]
	global_load_ushort v1, v[2:3], off
	v_add_co_u32_e32 v62, vcc, v61, v4
	buffer_load_dword v4, off, s[96:99], 0 offset:4 ; 4-byte Folded Reload
	v_mov_b32_e32 v59, 0
	s_waitcnt vmcnt(1)
	buffer_store_dword v1, off, s[96:99], 0 ; 4-byte Folded Spill
	s_waitcnt vmcnt(1)
	v_addc_co_u32_e32 v4, vcc, v4, v5, vcc
	s_and_saveexec_b64 s[0:1], s[22:23]
	s_cbranch_execz .LBB29_9
; %bb.8:                                ;   in Loop: Header=BB29_7 Depth=2
	buffer_load_dword v5, off, s[96:99], 0 offset:12 ; 4-byte Folded Reload
	buffer_load_dword v6, off, s[96:99], 0 offset:16 ; 4-byte Folded Reload
	s_waitcnt vmcnt(1)
	v_add_co_u32_e32 v5, vcc, v62, v5
	s_waitcnt vmcnt(0)
	v_addc_co_u32_e32 v6, vcc, v4, v6, vcc
	global_load_ushort v5, v[5:6], off
	s_waitcnt vmcnt(0)
	v_lshlrev_b32_e32 v59, 16, v5
.LBB29_9:                               ;   in Loop: Header=BB29_7 Depth=2
	s_or_b64 exec, exec, s[0:1]
	global_load_ushort v5, v[2:3], off offset:2
	v_mov_b32_e32 v6, 0
	v_mov_b32_e32 v7, 0
	s_and_saveexec_b64 s[0:1], s[24:25]
	s_cbranch_execz .LBB29_11
; %bb.10:                               ;   in Loop: Header=BB29_7 Depth=2
	buffer_load_dword v7, off, s[96:99], 0 offset:20 ; 4-byte Folded Reload
	buffer_load_dword v8, off, s[96:99], 0 offset:24 ; 4-byte Folded Reload
	s_waitcnt vmcnt(1)
	v_add_co_u32_e32 v7, vcc, v62, v7
	s_waitcnt vmcnt(0)
	v_addc_co_u32_e32 v8, vcc, v4, v8, vcc
	global_load_ushort v7, v[7:8], off
	s_waitcnt vmcnt(0)
	v_lshlrev_b32_e32 v7, 16, v7
.LBB29_11:                              ;   in Loop: Header=BB29_7 Depth=2
	s_or_b64 exec, exec, s[0:1]
	global_load_ushort v1, v[2:3], off offset:4
	s_and_saveexec_b64 s[0:1], s[26:27]
	s_cbranch_execz .LBB29_13
; %bb.12:                               ;   in Loop: Header=BB29_7 Depth=2
	buffer_load_dword v9, off, s[96:99], 0 offset:28 ; 4-byte Folded Reload
	buffer_load_dword v10, off, s[96:99], 0 offset:32 ; 4-byte Folded Reload
	s_waitcnt vmcnt(1)
	v_add_co_u32_e32 v9, vcc, v62, v9
	s_waitcnt vmcnt(0)
	v_addc_co_u32_e32 v10, vcc, v4, v10, vcc
	global_load_ushort v6, v[9:10], off
	s_waitcnt vmcnt(0)
	v_lshlrev_b32_e32 v6, 16, v6
.LBB29_13:                              ;   in Loop: Header=BB29_7 Depth=2
	s_or_b64 exec, exec, s[0:1]
	global_load_ushort v57, v[2:3], off offset:6
	v_mov_b32_e32 v10, 0
	v_mov_b32_e32 v11, 0
	s_and_saveexec_b64 s[0:1], s[62:63]
	s_cbranch_execz .LBB29_15
; %bb.14:                               ;   in Loop: Header=BB29_7 Depth=2
	buffer_load_dword v11, off, s[96:99], 0 offset:36 ; 4-byte Folded Reload
	buffer_load_dword v12, off, s[96:99], 0 offset:40 ; 4-byte Folded Reload
	s_waitcnt vmcnt(1)
	v_add_co_u32_e32 v11, vcc, v62, v11
	s_waitcnt vmcnt(0)
	v_addc_co_u32_e32 v12, vcc, v4, v12, vcc
	global_load_ushort v11, v[11:12], off
	s_waitcnt vmcnt(0)
	v_lshlrev_b32_e32 v11, 16, v11
.LBB29_15:                              ;   in Loop: Header=BB29_7 Depth=2
	s_or_b64 exec, exec, s[0:1]
	global_load_ushort v12, v[2:3], off offset:8
	s_and_saveexec_b64 s[0:1], s[64:65]
	s_cbranch_execz .LBB29_17
; %bb.16:                               ;   in Loop: Header=BB29_7 Depth=2
	buffer_load_dword v13, off, s[96:99], 0 offset:44 ; 4-byte Folded Reload
	buffer_load_dword v14, off, s[96:99], 0 offset:48 ; 4-byte Folded Reload
	s_waitcnt vmcnt(1)
	v_add_co_u32_e32 v13, vcc, v62, v13
	s_waitcnt vmcnt(0)
	v_addc_co_u32_e32 v14, vcc, v4, v14, vcc
	global_load_ushort v10, v[13:14], off
	s_waitcnt vmcnt(0)
	v_lshlrev_b32_e32 v10, 16, v10
.LBB29_17:                              ;   in Loop: Header=BB29_7 Depth=2
	;; [unrolled: 32-line block ×12, first 2 shown]
	s_or_b64 exec, exec, s[0:1]
	global_load_ushort v53, v[2:3], off offset:50
	v_mov_b32_e32 v54, 0
	v_mov_b32_e32 v55, 0
	s_and_saveexec_b64 s[0:1], s[8:9]
	s_cbranch_execz .LBB29_59
; %bb.58:                               ;   in Loop: Header=BB29_7 Depth=2
	buffer_load_dword v55, off, s[96:99], 0 offset:212 ; 4-byte Folded Reload
	buffer_load_dword v56, off, s[96:99], 0 offset:216 ; 4-byte Folded Reload
	s_waitcnt vmcnt(1)
	v_add_co_u32_e32 v55, vcc, v62, v55
	s_waitcnt vmcnt(0)
	v_addc_co_u32_e32 v56, vcc, v4, v56, vcc
	global_load_ushort v55, v[55:56], off
	s_waitcnt vmcnt(0)
	v_lshlrev_b32_e32 v55, 16, v55
.LBB29_59:                              ;   in Loop: Header=BB29_7 Depth=2
	s_or_b64 exec, exec, s[0:1]
	global_load_ushort v56, v[2:3], off offset:52
	s_and_saveexec_b64 s[0:1], s[6:7]
	s_cbranch_execz .LBB29_6
; %bb.60:                               ;   in Loop: Header=BB29_7 Depth=2
	buffer_load_dword v8, off, s[96:99], 0 offset:220 ; 4-byte Folded Reload
	buffer_load_dword v9, off, s[96:99], 0 offset:224 ; 4-byte Folded Reload
	v_mov_b32_e32 v54, v61
	s_waitcnt vmcnt(1)
	v_add_co_u32_e32 v61, vcc, v62, v8
	s_waitcnt vmcnt(0)
	v_addc_co_u32_e32 v62, vcc, v4, v9, vcc
	global_load_ushort v4, v[61:62], off
	v_mov_b32_e32 v61, v54
	s_waitcnt vmcnt(0)
	v_lshlrev_b32_e32 v54, 16, v4
	s_branch .LBB29_6
.LBB29_61:                              ;   in Loop: Header=BB29_4 Depth=1
	v_mov_b32_e32 v0, 0
	s_branch .LBB29_3
.LBB29_62:
	s_endpgm
	.section	.rodata,"a",@progbits
	.p2align	6, 0x0
	.amdhsa_kernel _ZN2at6native12_GLOBAL__N_143conv_depthwise3d_cuda_backward_input_kernelIN3c108BFloat16EfLi3ELi3ELi3ELin1ELin1ELin1ELi1ELi1ELi1EEEvN5torch10headeronly6detail27GenericPackedTensorAccessorINS7_14TensorAccessorINS3_8ArrayRefIlEEKT_Lm4ENS6_16DefaultPtrTraitsEiEENS_6detail16IndexBoundsCheckILm5EiEESD_Lm5ESE_iEENS8_INS9_ISB_SC_Lm4ESE_iEESI_SC_Lm5ESE_iEESJ_iiiiiiiii
		.amdhsa_group_segment_fixed_size 0
		.amdhsa_private_segment_fixed_size 276
		.amdhsa_kernarg_size 440
		.amdhsa_user_sgpr_count 6
		.amdhsa_user_sgpr_private_segment_buffer 1
		.amdhsa_user_sgpr_dispatch_ptr 0
		.amdhsa_user_sgpr_queue_ptr 0
		.amdhsa_user_sgpr_kernarg_segment_ptr 1
		.amdhsa_user_sgpr_dispatch_id 0
		.amdhsa_user_sgpr_flat_scratch_init 0
		.amdhsa_user_sgpr_private_segment_size 0
		.amdhsa_uses_dynamic_stack 0
		.amdhsa_system_sgpr_private_segment_wavefront_offset 1
		.amdhsa_system_sgpr_workgroup_id_x 1
		.amdhsa_system_sgpr_workgroup_id_y 0
		.amdhsa_system_sgpr_workgroup_id_z 0
		.amdhsa_system_sgpr_workgroup_info 0
		.amdhsa_system_vgpr_workitem_id 0
		.amdhsa_next_free_vgpr 64
		.amdhsa_next_free_sgpr 100
		.amdhsa_reserve_vcc 1
		.amdhsa_reserve_flat_scratch 0
		.amdhsa_float_round_mode_32 0
		.amdhsa_float_round_mode_16_64 0
		.amdhsa_float_denorm_mode_32 3
		.amdhsa_float_denorm_mode_16_64 3
		.amdhsa_dx10_clamp 1
		.amdhsa_ieee_mode 1
		.amdhsa_fp16_overflow 0
		.amdhsa_exception_fp_ieee_invalid_op 0
		.amdhsa_exception_fp_denorm_src 0
		.amdhsa_exception_fp_ieee_div_zero 0
		.amdhsa_exception_fp_ieee_overflow 0
		.amdhsa_exception_fp_ieee_underflow 0
		.amdhsa_exception_fp_ieee_inexact 0
		.amdhsa_exception_int_div_zero 0
	.end_amdhsa_kernel
	.section	.text._ZN2at6native12_GLOBAL__N_143conv_depthwise3d_cuda_backward_input_kernelIN3c108BFloat16EfLi3ELi3ELi3ELin1ELin1ELin1ELi1ELi1ELi1EEEvN5torch10headeronly6detail27GenericPackedTensorAccessorINS7_14TensorAccessorINS3_8ArrayRefIlEEKT_Lm4ENS6_16DefaultPtrTraitsEiEENS_6detail16IndexBoundsCheckILm5EiEESD_Lm5ESE_iEENS8_INS9_ISB_SC_Lm4ESE_iEESI_SC_Lm5ESE_iEESJ_iiiiiiiii,"axG",@progbits,_ZN2at6native12_GLOBAL__N_143conv_depthwise3d_cuda_backward_input_kernelIN3c108BFloat16EfLi3ELi3ELi3ELin1ELin1ELin1ELi1ELi1ELi1EEEvN5torch10headeronly6detail27GenericPackedTensorAccessorINS7_14TensorAccessorINS3_8ArrayRefIlEEKT_Lm4ENS6_16DefaultPtrTraitsEiEENS_6detail16IndexBoundsCheckILm5EiEESD_Lm5ESE_iEENS8_INS9_ISB_SC_Lm4ESE_iEESI_SC_Lm5ESE_iEESJ_iiiiiiiii,comdat
.Lfunc_end29:
	.size	_ZN2at6native12_GLOBAL__N_143conv_depthwise3d_cuda_backward_input_kernelIN3c108BFloat16EfLi3ELi3ELi3ELin1ELin1ELin1ELi1ELi1ELi1EEEvN5torch10headeronly6detail27GenericPackedTensorAccessorINS7_14TensorAccessorINS3_8ArrayRefIlEEKT_Lm4ENS6_16DefaultPtrTraitsEiEENS_6detail16IndexBoundsCheckILm5EiEESD_Lm5ESE_iEENS8_INS9_ISB_SC_Lm4ESE_iEESI_SC_Lm5ESE_iEESJ_iiiiiiiii, .Lfunc_end29-_ZN2at6native12_GLOBAL__N_143conv_depthwise3d_cuda_backward_input_kernelIN3c108BFloat16EfLi3ELi3ELi3ELin1ELin1ELin1ELi1ELi1ELi1EEEvN5torch10headeronly6detail27GenericPackedTensorAccessorINS7_14TensorAccessorINS3_8ArrayRefIlEEKT_Lm4ENS6_16DefaultPtrTraitsEiEENS_6detail16IndexBoundsCheckILm5EiEESD_Lm5ESE_iEENS8_INS9_ISB_SC_Lm4ESE_iEESI_SC_Lm5ESE_iEESJ_iiiiiiiii
                                        ; -- End function
	.set _ZN2at6native12_GLOBAL__N_143conv_depthwise3d_cuda_backward_input_kernelIN3c108BFloat16EfLi3ELi3ELi3ELin1ELin1ELin1ELi1ELi1ELi1EEEvN5torch10headeronly6detail27GenericPackedTensorAccessorINS7_14TensorAccessorINS3_8ArrayRefIlEEKT_Lm4ENS6_16DefaultPtrTraitsEiEENS_6detail16IndexBoundsCheckILm5EiEESD_Lm5ESE_iEENS8_INS9_ISB_SC_Lm4ESE_iEESI_SC_Lm5ESE_iEESJ_iiiiiiiii.num_vgpr, 64
	.set _ZN2at6native12_GLOBAL__N_143conv_depthwise3d_cuda_backward_input_kernelIN3c108BFloat16EfLi3ELi3ELi3ELin1ELin1ELin1ELi1ELi1ELi1EEEvN5torch10headeronly6detail27GenericPackedTensorAccessorINS7_14TensorAccessorINS3_8ArrayRefIlEEKT_Lm4ENS6_16DefaultPtrTraitsEiEENS_6detail16IndexBoundsCheckILm5EiEESD_Lm5ESE_iEENS8_INS9_ISB_SC_Lm4ESE_iEESI_SC_Lm5ESE_iEESJ_iiiiiiiii.num_agpr, 0
	.set _ZN2at6native12_GLOBAL__N_143conv_depthwise3d_cuda_backward_input_kernelIN3c108BFloat16EfLi3ELi3ELi3ELin1ELin1ELin1ELi1ELi1ELi1EEEvN5torch10headeronly6detail27GenericPackedTensorAccessorINS7_14TensorAccessorINS3_8ArrayRefIlEEKT_Lm4ENS6_16DefaultPtrTraitsEiEENS_6detail16IndexBoundsCheckILm5EiEESD_Lm5ESE_iEENS8_INS9_ISB_SC_Lm4ESE_iEESI_SC_Lm5ESE_iEESJ_iiiiiiiii.numbered_sgpr, 100
	.set _ZN2at6native12_GLOBAL__N_143conv_depthwise3d_cuda_backward_input_kernelIN3c108BFloat16EfLi3ELi3ELi3ELin1ELin1ELin1ELi1ELi1ELi1EEEvN5torch10headeronly6detail27GenericPackedTensorAccessorINS7_14TensorAccessorINS3_8ArrayRefIlEEKT_Lm4ENS6_16DefaultPtrTraitsEiEENS_6detail16IndexBoundsCheckILm5EiEESD_Lm5ESE_iEENS8_INS9_ISB_SC_Lm4ESE_iEESI_SC_Lm5ESE_iEESJ_iiiiiiiii.num_named_barrier, 0
	.set _ZN2at6native12_GLOBAL__N_143conv_depthwise3d_cuda_backward_input_kernelIN3c108BFloat16EfLi3ELi3ELi3ELin1ELin1ELin1ELi1ELi1ELi1EEEvN5torch10headeronly6detail27GenericPackedTensorAccessorINS7_14TensorAccessorINS3_8ArrayRefIlEEKT_Lm4ENS6_16DefaultPtrTraitsEiEENS_6detail16IndexBoundsCheckILm5EiEESD_Lm5ESE_iEENS8_INS9_ISB_SC_Lm4ESE_iEESI_SC_Lm5ESE_iEESJ_iiiiiiiii.private_seg_size, 276
	.set _ZN2at6native12_GLOBAL__N_143conv_depthwise3d_cuda_backward_input_kernelIN3c108BFloat16EfLi3ELi3ELi3ELin1ELin1ELin1ELi1ELi1ELi1EEEvN5torch10headeronly6detail27GenericPackedTensorAccessorINS7_14TensorAccessorINS3_8ArrayRefIlEEKT_Lm4ENS6_16DefaultPtrTraitsEiEENS_6detail16IndexBoundsCheckILm5EiEESD_Lm5ESE_iEENS8_INS9_ISB_SC_Lm4ESE_iEESI_SC_Lm5ESE_iEESJ_iiiiiiiii.uses_vcc, 1
	.set _ZN2at6native12_GLOBAL__N_143conv_depthwise3d_cuda_backward_input_kernelIN3c108BFloat16EfLi3ELi3ELi3ELin1ELin1ELin1ELi1ELi1ELi1EEEvN5torch10headeronly6detail27GenericPackedTensorAccessorINS7_14TensorAccessorINS3_8ArrayRefIlEEKT_Lm4ENS6_16DefaultPtrTraitsEiEENS_6detail16IndexBoundsCheckILm5EiEESD_Lm5ESE_iEENS8_INS9_ISB_SC_Lm4ESE_iEESI_SC_Lm5ESE_iEESJ_iiiiiiiii.uses_flat_scratch, 0
	.set _ZN2at6native12_GLOBAL__N_143conv_depthwise3d_cuda_backward_input_kernelIN3c108BFloat16EfLi3ELi3ELi3ELin1ELin1ELin1ELi1ELi1ELi1EEEvN5torch10headeronly6detail27GenericPackedTensorAccessorINS7_14TensorAccessorINS3_8ArrayRefIlEEKT_Lm4ENS6_16DefaultPtrTraitsEiEENS_6detail16IndexBoundsCheckILm5EiEESD_Lm5ESE_iEENS8_INS9_ISB_SC_Lm4ESE_iEESI_SC_Lm5ESE_iEESJ_iiiiiiiii.has_dyn_sized_stack, 0
	.set _ZN2at6native12_GLOBAL__N_143conv_depthwise3d_cuda_backward_input_kernelIN3c108BFloat16EfLi3ELi3ELi3ELin1ELin1ELin1ELi1ELi1ELi1EEEvN5torch10headeronly6detail27GenericPackedTensorAccessorINS7_14TensorAccessorINS3_8ArrayRefIlEEKT_Lm4ENS6_16DefaultPtrTraitsEiEENS_6detail16IndexBoundsCheckILm5EiEESD_Lm5ESE_iEENS8_INS9_ISB_SC_Lm4ESE_iEESI_SC_Lm5ESE_iEESJ_iiiiiiiii.has_recursion, 0
	.set _ZN2at6native12_GLOBAL__N_143conv_depthwise3d_cuda_backward_input_kernelIN3c108BFloat16EfLi3ELi3ELi3ELin1ELin1ELin1ELi1ELi1ELi1EEEvN5torch10headeronly6detail27GenericPackedTensorAccessorINS7_14TensorAccessorINS3_8ArrayRefIlEEKT_Lm4ENS6_16DefaultPtrTraitsEiEENS_6detail16IndexBoundsCheckILm5EiEESD_Lm5ESE_iEENS8_INS9_ISB_SC_Lm4ESE_iEESI_SC_Lm5ESE_iEESJ_iiiiiiiii.has_indirect_call, 0
	.section	.AMDGPU.csdata,"",@progbits
; Kernel info:
; codeLenInByte = 5780
; TotalNumSgprs: 104
; NumVgprs: 64
; ScratchSize: 276
; MemoryBound: 0
; FloatMode: 240
; IeeeMode: 1
; LDSByteSize: 0 bytes/workgroup (compile time only)
; SGPRBlocks: 12
; VGPRBlocks: 15
; NumSGPRsForWavesPerEU: 104
; NumVGPRsForWavesPerEU: 64
; Occupancy: 4
; WaveLimiterHint : 0
; COMPUTE_PGM_RSRC2:SCRATCH_EN: 1
; COMPUTE_PGM_RSRC2:USER_SGPR: 6
; COMPUTE_PGM_RSRC2:TRAP_HANDLER: 0
; COMPUTE_PGM_RSRC2:TGID_X_EN: 1
; COMPUTE_PGM_RSRC2:TGID_Y_EN: 0
; COMPUTE_PGM_RSRC2:TGID_Z_EN: 0
; COMPUTE_PGM_RSRC2:TIDIG_COMP_CNT: 0
	.section	.text._ZN2at6native12_GLOBAL__N_143conv_depthwise3d_cuda_backward_input_kernelIN3c108BFloat16EfLi3ELi3ELi3ELin1ELin1ELin1ELin1ELin1ELin1EEEvN5torch10headeronly6detail27GenericPackedTensorAccessorINS7_14TensorAccessorINS3_8ArrayRefIlEEKT_Lm4ENS6_16DefaultPtrTraitsEiEENS_6detail16IndexBoundsCheckILm5EiEESD_Lm5ESE_iEENS8_INS9_ISB_SC_Lm4ESE_iEESI_SC_Lm5ESE_iEESJ_iiiiiiiii,"axG",@progbits,_ZN2at6native12_GLOBAL__N_143conv_depthwise3d_cuda_backward_input_kernelIN3c108BFloat16EfLi3ELi3ELi3ELin1ELin1ELin1ELin1ELin1ELin1EEEvN5torch10headeronly6detail27GenericPackedTensorAccessorINS7_14TensorAccessorINS3_8ArrayRefIlEEKT_Lm4ENS6_16DefaultPtrTraitsEiEENS_6detail16IndexBoundsCheckILm5EiEESD_Lm5ESE_iEENS8_INS9_ISB_SC_Lm4ESE_iEESI_SC_Lm5ESE_iEESJ_iiiiiiiii,comdat
	.globl	_ZN2at6native12_GLOBAL__N_143conv_depthwise3d_cuda_backward_input_kernelIN3c108BFloat16EfLi3ELi3ELi3ELin1ELin1ELin1ELin1ELin1ELin1EEEvN5torch10headeronly6detail27GenericPackedTensorAccessorINS7_14TensorAccessorINS3_8ArrayRefIlEEKT_Lm4ENS6_16DefaultPtrTraitsEiEENS_6detail16IndexBoundsCheckILm5EiEESD_Lm5ESE_iEENS8_INS9_ISB_SC_Lm4ESE_iEESI_SC_Lm5ESE_iEESJ_iiiiiiiii ; -- Begin function _ZN2at6native12_GLOBAL__N_143conv_depthwise3d_cuda_backward_input_kernelIN3c108BFloat16EfLi3ELi3ELi3ELin1ELin1ELin1ELin1ELin1ELin1EEEvN5torch10headeronly6detail27GenericPackedTensorAccessorINS7_14TensorAccessorINS3_8ArrayRefIlEEKT_Lm4ENS6_16DefaultPtrTraitsEiEENS_6detail16IndexBoundsCheckILm5EiEESD_Lm5ESE_iEENS8_INS9_ISB_SC_Lm4ESE_iEESI_SC_Lm5ESE_iEESJ_iiiiiiiii
	.p2align	8
	.type	_ZN2at6native12_GLOBAL__N_143conv_depthwise3d_cuda_backward_input_kernelIN3c108BFloat16EfLi3ELi3ELi3ELin1ELin1ELin1ELin1ELin1ELin1EEEvN5torch10headeronly6detail27GenericPackedTensorAccessorINS7_14TensorAccessorINS3_8ArrayRefIlEEKT_Lm4ENS6_16DefaultPtrTraitsEiEENS_6detail16IndexBoundsCheckILm5EiEESD_Lm5ESE_iEENS8_INS9_ISB_SC_Lm4ESE_iEESI_SC_Lm5ESE_iEESJ_iiiiiiiii,@function
_ZN2at6native12_GLOBAL__N_143conv_depthwise3d_cuda_backward_input_kernelIN3c108BFloat16EfLi3ELi3ELi3ELin1ELin1ELin1ELin1ELin1ELin1EEEvN5torch10headeronly6detail27GenericPackedTensorAccessorINS7_14TensorAccessorINS3_8ArrayRefIlEEKT_Lm4ENS6_16DefaultPtrTraitsEiEENS_6detail16IndexBoundsCheckILm5EiEESD_Lm5ESE_iEENS8_INS9_ISB_SC_Lm4ESE_iEESI_SC_Lm5ESE_iEESJ_iiiiiiiii: ; @_ZN2at6native12_GLOBAL__N_143conv_depthwise3d_cuda_backward_input_kernelIN3c108BFloat16EfLi3ELi3ELi3ELin1ELin1ELin1ELin1ELin1ELin1EEEvN5torch10headeronly6detail27GenericPackedTensorAccessorINS7_14TensorAccessorINS3_8ArrayRefIlEEKT_Lm4ENS6_16DefaultPtrTraitsEiEENS_6detail16IndexBoundsCheckILm5EiEESD_Lm5ESE_iEENS8_INS9_ISB_SC_Lm4ESE_iEESI_SC_Lm5ESE_iEESJ_iiiiiiiii
; %bb.0:
	s_load_dwordx4 s[8:11], s[4:5], 0x38
	s_load_dwordx2 s[16:17], s[4:5], 0x48
	s_mov_b64 s[98:99], s[2:3]
	s_mov_b64 s[96:97], s[0:1]
	s_add_u32 s96, s96, s7
	s_addc_u32 s97, s97, 0
	s_waitcnt lgkmcnt(0)
	s_abs_i32 s0, s9
	v_cvt_f32_u32_e32 v2, s0
	s_load_dword s2, s[4:5], 0xc4
                                        ; implicit-def: $vgpr62 : SGPR spill to VGPR lane
	v_mov_b32_e32 v1, 0
	v_writelane_b32 v62, s0, 0
	v_rcp_iflag_f32_e32 v2, v2
	s_add_u32 s0, s4, 0xb8
	v_mov_b32_e32 v3, s6
	s_addc_u32 s1, s5, 0
	s_waitcnt lgkmcnt(0)
	s_and_b32 s2, s2, 0xffff
	v_mad_u64_u32 v[3:4], s[6:7], s2, v3, v[0:1]
	v_mul_f32_e32 v2, 0x4f7ffffe, v2
	v_writelane_b32 v62, s8, 1
	v_cvt_u32_f32_e32 v0, v2
	v_writelane_b32 v62, s9, 2
	v_mov_b32_e32 v2, v3
	v_writelane_b32 v62, s10, 3
	s_mul_i32 s6, s17, s8
	v_mov_b32_e32 v3, v4
	v_writelane_b32 v62, s11, 4
	s_ashr_i32 s7, s6, 31
	v_writelane_b32 v62, s6, 5
	v_cmp_gt_i64_e32 vcc, s[6:7], v[2:3]
	v_writelane_b32 v62, s7, 6
	v_readfirstlane_b32 s3, v0
	s_and_saveexec_b64 s[6:7], vcc
	s_cbranch_execz .LBB30_63
; %bb.1:
	s_load_dwordx2 s[8:9], s[4:5], 0x0
	s_load_dwordx4 s[20:23], s[4:5], 0xc
	s_load_dwordx4 s[12:15], s[4:5], 0x38
	v_readlane_b32 s11, v62, 0
	s_sub_i32 s6, 0, s11
                                        ; kill: killed $sgpr0 killed $sgpr1
	v_mov_b32_e32 v7, v3
	s_waitcnt lgkmcnt(0)
	v_writelane_b32 v62, s8, 7
	v_writelane_b32 v62, s9, 8
	s_mul_i32 s9, s6, s3
	s_mul_hi_u32 s9, s3, s9
	s_ashr_i32 s7, s20, 31
	v_writelane_b32 v62, s20, 9
	s_abs_i32 s8, s20
	s_add_i32 s3, s3, s9
	v_writelane_b32 v62, s21, 10
	s_mul_hi_u32 s3, s8, s3
	v_writelane_b32 v62, s22, 11
	s_mul_i32 s9, s3, s11
	s_ashr_i32 s10, s13, 31
	v_writelane_b32 v62, s23, 12
	s_sub_i32 s8, s8, s9
	v_writelane_b32 v62, s10, 13
	s_xor_b32 s7, s7, s10
	s_add_i32 s9, s3, 1
	s_sub_i32 s10, s8, s11
	s_cmp_ge_u32 s8, s11
	s_cselect_b32 s3, s9, s3
	s_cselect_b32 s8, s10, s8
	s_add_i32 s9, s3, 1
	s_cmp_ge_u32 s8, s11
	s_cselect_b32 s3, s9, s3
	s_xor_b32 s3, s3, s7
	s_load_dwordx8 s[20:27], s[4:5], 0x90
	s_load_dword s12, s[4:5], 0xb0
	s_sub_i32 s7, s3, s7
	s_load_dword s3, s[0:1], 0x0
	s_load_dword s8, s[4:5], 0x7c
	s_cmp_gt_i32 s7, 0
	s_cselect_b64 s[0:1], -1, 0
	v_mov_b32_e32 v6, v2
	s_waitcnt lgkmcnt(0)
	s_mul_i32 s2, s3, s2
	v_writelane_b32 v62, s8, 14
	s_load_dwordx2 s[70:71], s[4:5], 0x1c
	s_load_dwordx2 s[8:9], s[4:5], 0x30
	s_abs_i32 s3, s15
	v_cvt_f32_u32_e32 v2, s3
                                        ; kill: killed $sgpr4 killed $sgpr5
	s_abs_i32 s33, s22
	s_waitcnt lgkmcnt(0)
	v_writelane_b32 v62, s8, 15
	v_writelane_b32 v62, s9, 16
	s_load_dwordx2 s[8:9], s[4:5], 0x60
	v_writelane_b32 v62, s7, 17
	s_abs_i32 s7, s16
	v_cvt_f32_u32_e32 v1, s7
	v_rcp_iflag_f32_e32 v2, v2
	s_waitcnt lgkmcnt(0)
	v_writelane_b32 v62, s8, 18
	v_writelane_b32 v62, s9, 19
	s_load_dwordx4 s[8:11], s[4:5], 0x50
	v_rcp_iflag_f32_e32 v1, v1
	s_abs_i32 s4, s14
	v_cvt_f32_u32_e32 v4, s4
	v_mul_f32_e32 v2, 0x4f7ffffe, v2
	s_waitcnt lgkmcnt(0)
	v_writelane_b32 v62, s8, 20
	v_writelane_b32 v62, s9, 21
	v_writelane_b32 v62, s10, 22
	v_writelane_b32 v62, s11, 23
	v_writelane_b32 v62, s2, 24
	v_writelane_b32 v62, s12, 25
	s_lshl_b32 s2, s12, 1
	v_mul_f32_e32 v1, 0x4f7ffffe, v1
	v_writelane_b32 v62, s2, 26
	s_lshl_b32 s2, s27, 1
	v_cvt_u32_f32_e32 v1, v1
	v_writelane_b32 v62, s2, 27
	s_lshl_b32 s2, s26, 1
	v_writelane_b32 v62, s2, 28
	s_ashr_i32 s2, s16, 31
	v_writelane_b32 v62, s2, 29
	s_sub_i32 s2, 0, s7
	v_mul_lo_u32 v3, s2, v1
	v_cvt_u32_f32_e32 v2, v2
	v_rcp_iflag_f32_e32 v4, v4
	s_sub_i32 s2, 0, s3
	v_mul_hi_u32 v3, v1, v3
	v_writelane_b32 v62, s7, 30
	v_writelane_b32 v62, s3, 31
	s_ashr_i32 s3, s14, 31
	v_add_u32_e32 v1, v1, v3
	buffer_store_dword v1, off, s[96:99], 0 offset:260 ; 4-byte Folded Spill
	v_mul_lo_u32 v1, s2, v2
	v_mul_f32_e32 v3, 0x4f7ffffe, v4
	v_cvt_u32_f32_e32 v3, v3
	s_ashr_i32 s2, s15, 31
	v_writelane_b32 v62, s2, 32
	v_mul_hi_u32 v1, v2, v1
	s_sub_i32 s2, 0, s4
	v_mul_lo_u32 v4, s2, v3
	s_abs_i32 s2, s20
	v_cvt_f32_u32_e32 v5, s2
	v_add_u32_e32 v1, v2, v1
	buffer_store_dword v1, off, s[96:99], 0 offset:264 ; 4-byte Folded Spill
	v_mul_hi_u32 v1, v3, v4
	v_mul_lo_u32 v2, s6, v0
	v_rcp_iflag_f32_e32 v4, v5
	v_writelane_b32 v62, s4, 33
	v_writelane_b32 v62, s3, 34
	v_add_u32_e32 v1, v3, v1
	s_abs_i32 s3, s21
	buffer_store_dword v1, off, s[96:99], 0 offset:268 ; 4-byte Folded Spill
	v_mul_hi_u32 v1, v0, v2
	v_cvt_f32_u32_e32 v3, s3
	v_mul_f32_e32 v2, 0x4f7ffffe, v4
	v_cvt_f32_u32_e32 v4, s33
	v_add_u32_e32 v0, v0, v1
	v_rcp_iflag_f32_e32 v3, v3
	buffer_store_dword v0, off, s[96:99], 0 offset:272 ; 4-byte Folded Spill
	v_rcp_iflag_f32_e32 v0, v4
	v_cvt_u32_f32_e32 v2, v2
	v_mul_f32_e32 v3, 0x4f7ffffe, v3
	v_writelane_b32 v62, s2, 35
	s_sub_i32 s2, 0, s2
	v_cvt_u32_f32_e32 v3, v3
	v_mul_f32_e32 v0, 0x4f7ffffe, v0
	v_mul_lo_u32 v5, s2, v2
	v_cvt_u32_f32_e32 v0, v0
	s_sub_i32 s2, 0, s3
	v_mul_lo_u32 v4, s2, v3
	s_sub_i32 s2, 0, s33
	v_mul_hi_u32 v1, v2, v5
	v_writelane_b32 v62, s3, 36
	v_mul_lo_u32 v5, s2, v0
	s_ashr_i32 s2, s20, 31
	v_writelane_b32 v62, s2, 37
	s_ashr_i32 s2, s21, 31
	v_writelane_b32 v62, s2, 38
	v_writelane_b32 v62, s20, 39
	v_add_u32_e32 v1, v2, v1
	v_writelane_b32 v62, s21, 40
	buffer_store_dword v1, off, s[96:99], 0 offset:276 ; 4-byte Folded Spill
	v_mul_hi_u32 v1, v0, v5
	v_writelane_b32 v62, s22, 41
	v_writelane_b32 v62, s23, 42
	;; [unrolled: 1-line block ×4, first 2 shown]
	v_mul_hi_u32 v4, v3, v4
	v_writelane_b32 v62, s26, 45
	v_add_u32_e32 v0, v0, v1
	v_writelane_b32 v62, s27, 46
	s_ashr_i32 s2, s22, 31
	buffer_store_dword v0, off, s[96:99], 0 offset:284 ; 4-byte Folded Spill
	v_cndmask_b32_e64 v0, 0, 1, s[0:1]
	v_writelane_b32 v62, s2, 47
	v_cmp_ne_u32_e64 s[0:1], 1, v0
	v_writelane_b32 v62, s0, 48
	v_add_u32_e32 v2, v3, v4
	v_writelane_b32 v62, s1, 49
	buffer_store_dword v2, off, s[96:99], 0 offset:280 ; 4-byte Folded Spill
	v_mov_b32_e32 v2, v6
	v_writelane_b32 v62, s16, 50
	v_mov_b32_e32 v3, v7
	s_mov_b64 s[8:9], 0
	v_writelane_b32 v62, s17, 51
.LBB30_2:                               ; =>This Loop Header: Depth=1
                                        ;     Child Loop BB30_5 Depth 2
	buffer_load_dword v1, off, s[96:99], 0 offset:260 ; 4-byte Folded Reload
	v_sub_u32_e32 v0, 0, v2
	v_max_i32_e32 v0, v2, v0
	v_writelane_b32 v62, s8, 52
	v_writelane_b32 v62, s9, 53
	v_readlane_b32 s0, v62, 30
	v_mov_b32_e32 v9, v3
	v_mov_b32_e32 v8, v2
	v_ashrrev_i32_e32 v3, 31, v8
	v_readlane_b32 s1, v62, 29
	v_xor_b32_e32 v3, s1, v3
	v_readlane_b32 s1, v62, 32
	s_waitcnt vmcnt(0)
	v_mul_hi_u32 v1, v0, v1
	v_mul_lo_u32 v2, v1, s0
	v_add_u32_e32 v4, 1, v1
	v_sub_u32_e32 v0, v0, v2
	v_cmp_le_u32_e32 vcc, s0, v0
	v_subrev_u32_e32 v2, s0, v0
	v_cndmask_b32_e32 v1, v1, v4, vcc
	v_cndmask_b32_e32 v0, v0, v2, vcc
	v_add_u32_e32 v2, 1, v1
	v_cmp_le_u32_e32 vcc, s0, v0
	v_cndmask_b32_e32 v0, v1, v2, vcc
	buffer_load_dword v2, off, s[96:99], 0 offset:264 ; 4-byte Folded Reload
	v_xor_b32_e32 v0, v0, v3
	v_sub_u32_e32 v0, v0, v3
	v_sub_u32_e32 v1, 0, v0
	v_max_i32_e32 v1, v0, v1
	v_readlane_b32 s0, v62, 31
	v_ashrrev_i32_e32 v4, 31, v0
	v_xor_b32_e32 v4, s1, v4
	v_readlane_b32 s1, v62, 34
	s_waitcnt vmcnt(0)
	v_mul_hi_u32 v2, v1, v2
	v_mul_lo_u32 v3, v2, s0
	v_add_u32_e32 v5, 1, v2
	v_sub_u32_e32 v1, v1, v3
	v_cmp_le_u32_e32 vcc, s0, v1
	v_subrev_u32_e32 v3, s0, v1
	v_cndmask_b32_e32 v2, v2, v5, vcc
	v_cndmask_b32_e32 v1, v1, v3, vcc
	v_add_u32_e32 v3, 1, v2
	v_cmp_le_u32_e32 vcc, s0, v1
	v_cndmask_b32_e32 v1, v2, v3, vcc
	buffer_load_dword v3, off, s[96:99], 0 offset:268 ; 4-byte Folded Reload
	v_xor_b32_e32 v1, v1, v4
	v_sub_u32_e32 v1, v1, v4
	v_sub_u32_e32 v2, 0, v1
	v_max_i32_e32 v2, v1, v2
	v_readlane_b32 s0, v62, 33
	v_ashrrev_i32_e32 v6, 31, v1
	v_xor_b32_e32 v6, s1, v6
	v_mul_lo_u32 v4, v0, s16
	s_waitcnt vmcnt(0)
	v_mul_hi_u32 v3, v2, v3
	v_mul_lo_u32 v5, v3, s0
	v_add_u32_e32 v7, 1, v3
	v_sub_u32_e32 v2, v2, v5
	v_cmp_le_u32_e32 vcc, s0, v2
	v_subrev_u32_e32 v5, s0, v2
	v_cndmask_b32_e32 v3, v3, v7, vcc
	v_cndmask_b32_e32 v2, v2, v5, vcc
	v_add_u32_e32 v5, 1, v3
	v_cmp_le_u32_e32 vcc, s0, v2
	v_cndmask_b32_e32 v2, v3, v5, vcc
	buffer_load_dword v5, off, s[96:99], 0 offset:272 ; 4-byte Folded Reload
	s_nop 0
	buffer_store_dword v8, off, s[96:99], 0 offset:232 ; 4-byte Folded Spill
	s_nop 0
	buffer_store_dword v9, off, s[96:99], 0 offset:236 ; 4-byte Folded Spill
	v_xor_b32_e32 v2, v2, v6
	v_sub_u32_e32 v2, v2, v6
	v_sub_u32_e32 v3, 0, v2
	v_max_i32_e32 v3, v2, v3
	v_readlane_b32 s0, v62, 1
	v_readlane_b32 s0, v62, 0
	;; [unrolled: 1-line block ×3, first 2 shown]
	v_mul_lo_u32 v7, v2, s2
	v_readlane_b32 s2, v62, 13
	v_readlane_b32 s1, v62, 2
	;; [unrolled: 1-line block ×3, first 2 shown]
	v_sub_u32_e32 v7, v1, v7
	v_sub_u32_e32 v9, v8, v4
	s_waitcnt vmcnt(2)
	v_mul_hi_u32 v5, v3, v5
	v_ashrrev_i32_e32 v8, 31, v2
	v_xor_b32_e32 v8, s2, v8
	v_mul_lo_u32 v4, v1, s3
	v_mul_lo_u32 v6, v5, s0
	v_sub_u32_e32 v3, v3, v6
	v_add_u32_e32 v6, 1, v5
	v_cmp_le_u32_e32 vcc, s0, v3
	v_cndmask_b32_e32 v5, v5, v6, vcc
	v_subrev_u32_e32 v6, s0, v3
	v_cndmask_b32_e32 v3, v3, v6, vcc
	v_add_u32_e32 v6, 1, v5
	v_cmp_le_u32_e32 vcc, s0, v3
	v_cndmask_b32_e32 v3, v5, v6, vcc
	v_xor_b32_e32 v3, v3, v8
	v_sub_u32_e32 v5, v3, v8
	v_mul_lo_u32 v3, v5, s1
	v_readlane_b32 s0, v62, 48
	v_readlane_b32 s1, v62, 49
	v_sub_u32_e32 v8, v0, v4
	s_and_b64 vcc, exec, s[0:1]
	v_sub_u32_e32 v58, v2, v3
	s_cbranch_vccnz .LBB30_60
; %bb.3:                                ;   in Loop: Header=BB30_2 Depth=1
	buffer_load_dword v16, off, s[96:99], 0 offset:276 ; 4-byte Folded Reload
	buffer_load_dword v13, off, s[96:99], 0 offset:280 ; 4-byte Folded Reload
	;; [unrolled: 1-line block ×3, first 2 shown]
	v_readlane_b32 s52, v62, 39
	v_readlane_b32 s55, v62, 42
	buffer_store_dword v7, off, s[96:99], 0 offset:248 ; 4-byte Folded Spill
	v_add_u32_e32 v7, s55, v7
	v_sub_u32_e32 v0, 0, v7
	v_mul_lo_u32 v2, s70, v5
	v_max_i32_e32 v0, v7, v0
	v_readlane_b32 s0, v62, 7
	v_readlane_b32 s1, v62, 8
	buffer_store_dword v5, off, s[96:99], 0 offset:256 ; 4-byte Folded Spill
	v_ashrrev_i32_e32 v3, 31, v2
	v_mov_b32_e32 v5, s1
	v_readlane_b32 s1, v62, 35
	v_lshlrev_b64 v[2:3], 1, v[2:3]
	v_readlane_b32 s56, v62, 43
	buffer_store_dword v8, off, s[96:99], 0 offset:244 ; 4-byte Folded Spill
	v_add_u32_e32 v8, s56, v8
	v_add_co_u32_e32 v2, vcc, s0, v2
	buffer_store_dword v2, off, s[96:99], 0 offset:4 ; 4-byte Folded Spill
	v_addc_co_u32_e32 v2, vcc, v5, v3, vcc
	v_sub_u32_e32 v5, 0, v8
	v_readlane_b32 s57, v62, 44
	v_max_i32_e32 v5, v8, v5
	buffer_store_dword v9, off, s[96:99], 0 offset:240 ; 4-byte Folded Spill
	v_add_u32_e32 v1, s57, v9
	v_readlane_b32 s2, v62, 36
	buffer_store_dword v2, off, s[96:99], 0 offset:8 ; 4-byte Folded Spill
	v_ashrrev_i32_e32 v2, 31, v7
	v_readlane_b32 s50, v62, 37
	v_xor_b32_e32 v2, s50, v2
	v_readlane_b32 s3, v62, 38
	v_readlane_b32 s0, v62, 27
	v_subrev_u32_e32 v11, s0, v8
	v_readlane_b32 s6, v62, 47
	v_readlane_b32 s59, v62, 46
	v_subrev_u32_e32 v12, s59, v8
	;; [unrolled: 3-line block ×3, first 2 shown]
	s_mov_b64 s[58:59], s[70:71]
	v_readlane_b32 s68, v62, 9
	v_readlane_b32 s70, v62, 11
	;; [unrolled: 1-line block ×6, first 2 shown]
                                        ; implicit-def: $vgpr63 : SGPR spill to VGPR lane
	s_waitcnt vmcnt(8)
	v_mul_hi_u32 v4, v0, v16
	s_waitcnt vmcnt(7)
	v_mul_hi_u32 v9, v5, v13
	v_mul_lo_u32 v6, v4, s1
	v_add_u32_e32 v3, 1, v4
	v_sub_u32_e32 v0, v0, v6
	v_cmp_le_u32_e32 vcc, s1, v0
	v_cndmask_b32_e32 v3, v4, v3, vcc
	v_subrev_u32_e32 v4, s1, v0
	v_cndmask_b32_e32 v0, v0, v4, vcc
	v_add_u32_e32 v4, 1, v3
	v_cmp_le_u32_e32 vcc, s1, v0
	v_cndmask_b32_e32 v0, v3, v4, vcc
	v_mul_lo_u32 v3, v9, s2
	v_xor_b32_e32 v0, v0, v2
	v_sub_u32_e32 v6, v0, v2
	v_ashrrev_i32_e32 v0, 31, v8
	v_sub_u32_e32 v2, v5, v3
	v_cmp_le_u32_e32 vcc, s2, v2
	v_subrev_u32_e32 v4, s2, v2
	v_cndmask_b32_e32 v2, v2, v4, vcc
	v_sub_u32_e32 v4, 0, v1
	v_add_u32_e32 v3, 1, v9
	v_max_i32_e32 v5, v1, v4
	v_cndmask_b32_e32 v3, v9, v3, vcc
	s_waitcnt vmcnt(6)
	v_mul_hi_u32 v9, v5, v22
	v_add_u32_e32 v4, 1, v3
	v_cmp_le_u32_e32 vcc, s2, v2
	v_cndmask_b32_e32 v2, v3, v4, vcc
	v_mul_lo_u32 v3, v9, s33
	v_xor_b32_e32 v0, s3, v0
	v_xor_b32_e32 v2, v2, v0
	v_sub_u32_e32 v4, v2, v0
	v_sub_u32_e32 v2, v5, v3
	v_cmp_le_u32_e32 vcc, s33, v2
	v_subrev_u32_e32 v5, s33, v2
	v_add_u32_e32 v3, 1, v9
	v_cndmask_b32_e32 v2, v2, v5, vcc
	v_sub_u32_e32 v5, 0, v11
	v_cndmask_b32_e32 v3, v9, v3, vcc
	v_max_i32_e32 v9, v11, v5
	v_mul_hi_u32 v10, v9, v13
	v_add_u32_e32 v5, 1, v3
	v_cmp_le_u32_e32 vcc, s33, v2
	v_cndmask_b32_e32 v2, v3, v5, vcc
	v_mul_lo_u32 v3, v10, s2
	v_ashrrev_i32_e32 v0, 31, v1
	v_xor_b32_e32 v0, s6, v0
	v_xor_b32_e32 v2, v2, v0
	v_sub_u32_e32 v5, v2, v0
	v_sub_u32_e32 v0, v9, v3
	v_cmp_le_u32_e32 vcc, s2, v0
	v_subrev_u32_e32 v3, s2, v0
	v_cndmask_b32_e32 v0, v0, v3, vcc
	v_sub_u32_e32 v3, 0, v12
	v_add_u32_e32 v2, 1, v10
	v_max_i32_e32 v3, v12, v3
	v_cndmask_b32_e32 v2, v10, v2, vcc
	v_mul_hi_u32 v10, v3, v13
	v_add_u32_e32 v9, 1, v2
	v_ashrrev_i32_e32 v13, 31, v11
	v_cmp_le_u32_e32 vcc, s2, v0
	v_mul_lo_u32 v14, v10, s2
	v_xor_b32_e32 v13, s3, v13
	v_cndmask_b32_e32 v0, v2, v9, vcc
	v_xor_b32_e32 v0, v0, v13
	v_sub_u32_e32 v9, v0, v13
	v_sub_u32_e32 v0, v3, v14
	v_add_u32_e32 v2, 1, v10
	v_cmp_le_u32_e32 vcc, s2, v0
	v_subrev_u32_e32 v14, s0, v7
	v_cndmask_b32_e32 v2, v10, v2, vcc
	v_sub_u32_e32 v10, 0, v14
	v_max_i32_e32 v13, v14, v10
	v_mul_hi_u32 v15, v13, v16
	v_subrev_u32_e32 v3, s2, v0
	v_cndmask_b32_e32 v0, v0, v3, vcc
	v_add_u32_e32 v3, 1, v2
	v_cmp_le_u32_e32 vcc, s2, v0
	v_cndmask_b32_e32 v0, v2, v3, vcc
	v_mul_lo_u32 v3, v15, s1
	v_ashrrev_i32_e32 v2, 31, v12
	v_xor_b32_e32 v2, s3, v2
	v_xor_b32_e32 v0, v0, v2
	v_sub_u32_e32 v10, v0, v2
	v_sub_u32_e32 v0, v13, v3
	;; [unrolled: 1-line block ×3, first 2 shown]
	v_max_i32_e32 v3, v17, v3
	v_mul_hi_u32 v13, v3, v16
	v_add_u32_e32 v2, 1, v15
	v_cmp_le_u32_e32 vcc, s1, v0
	v_cndmask_b32_e32 v2, v15, v2, vcc
	v_subrev_u32_e32 v15, s1, v0
	v_cndmask_b32_e32 v0, v0, v15, vcc
	v_mul_lo_u32 v15, v13, s1
	v_add_u32_e32 v16, 1, v2
	v_cmp_le_u32_e32 vcc, s1, v0
	v_cndmask_b32_e32 v20, v2, v16, vcc
	v_sub_u32_e32 v0, v3, v15
	v_add_u32_e32 v2, 1, v13
	v_cmp_le_u32_e32 vcc, s1, v0
	v_subrev_u32_e32 v3, s1, v0
	v_cndmask_b32_e32 v2, v13, v2, vcc
	v_cndmask_b32_e32 v0, v0, v3, vcc
	v_readlane_b32 s0, v62, 25
	v_add_u32_e32 v3, 1, v2
	v_cmp_le_u32_e32 vcc, s1, v0
	v_subrev_u32_e32 v18, s0, v1
	v_cndmask_b32_e32 v0, v2, v3, vcc
	v_sub_u32_e32 v3, 0, v18
	v_max_i32_e32 v3, v18, v3
	v_mul_hi_u32 v13, v3, v22
	v_ashrrev_i32_e32 v2, 31, v17
	v_xor_b32_e32 v2, s50, v2
	v_xor_b32_e32 v0, v0, v2
	v_sub_u32_e32 v15, v0, v2
	v_mul_lo_u32 v0, v13, s33
	v_or_b32_e32 v21, v5, v4
	v_or_b32_e32 v2, v21, v6
	v_cmp_lt_i32_e32 vcc, -1, v2
	v_sub_u32_e32 v0, v3, v0
	v_add_u32_e32 v2, 1, v13
	v_cmp_le_u32_e64 s[2:3], s33, v0
	v_subrev_u32_e32 v3, s33, v0
	v_cndmask_b32_e64 v2, v13, v2, s[2:3]
	v_cndmask_b32_e64 v0, v0, v3, s[2:3]
	v_readlane_b32 s0, v62, 26
	v_add_u32_e32 v3, 1, v2
	v_cmp_le_u32_e64 s[2:3], s33, v0
	v_subrev_u32_e32 v19, s0, v1
	v_cndmask_b32_e64 v0, v2, v3, s[2:3]
	v_sub_u32_e32 v3, 0, v19
	v_max_i32_e32 v3, v19, v3
	v_mul_hi_u32 v16, v3, v22
	v_ashrrev_i32_e32 v2, 31, v18
	v_xor_b32_e32 v2, s6, v2
	v_xor_b32_e32 v0, v0, v2
	v_sub_u32_e32 v13, v0, v2
	v_mul_lo_u32 v0, v16, s33
	v_or_b32_e32 v22, v13, v4
	v_or_b32_e32 v2, v22, v6
	v_cmp_lt_i32_e64 s[2:3], -1, v2
	v_sub_u32_e32 v0, v3, v0
	v_add_u32_e32 v2, 1, v16
	v_cmp_le_u32_e64 s[4:5], s33, v0
	v_subrev_u32_e32 v3, s33, v0
	v_cndmask_b32_e64 v2, v16, v2, s[4:5]
	v_cndmask_b32_e64 v0, v0, v3, s[4:5]
	v_add_u32_e32 v3, 1, v2
	v_cmp_le_u32_e64 s[4:5], s33, v0
	v_cndmask_b32_e64 v0, v2, v3, s[4:5]
	v_ashrrev_i32_e32 v2, 31, v19
	v_xor_b32_e32 v2, s6, v2
	v_xor_b32_e32 v0, v0, v2
	v_sub_u32_e32 v16, v0, v2
	v_cmp_gt_i32_e64 s[26:27], s70, v4
	v_cmp_gt_i32_e64 s[28:29], s71, v5
	v_cmp_gt_i32_e64 s[30:31], s71, v13
	v_cmp_gt_i32_e64 s[34:35], s71, v16
	s_and_b64 s[48:49], s[28:29], s[26:27]
	s_and_b64 s[46:47], s[30:31], s[26:27]
	s_and_b64 s[44:45], s[34:35], s[26:27]
	v_cmp_gt_i32_e64 s[26:27], s70, v10
	s_and_b64 s[42:43], s[28:29], s[26:27]
	s_and_b64 s[40:41], s[30:31], s[26:27]
	s_and_b64 s[38:39], s[34:35], s[26:27]
	v_cmp_gt_i32_e64 s[26:27], s70, v9
	;; [unrolled: 4-line block ×3, first 2 shown]
	s_and_b64 s[30:31], s[48:49], vcc
	s_and_b64 s[30:31], s[30:31], s[26:27]
	v_or_b32_e32 v25, v16, v4
	v_writelane_b32 v62, s30, 54
	s_and_b64 s[2:3], s[46:47], s[2:3]
	v_or_b32_e32 v0, v25, v6
	v_writelane_b32 v62, s31, 55
	s_and_b64 s[2:3], s[2:3], s[26:27]
	v_cmp_lt_i32_e64 s[4:5], -1, v0
	v_writelane_b32 v62, s2, 56
	v_or_b32_e32 v24, v5, v10
	v_writelane_b32 v62, s3, 57
	s_and_b64 s[2:3], s[44:45], s[4:5]
	v_or_b32_e32 v0, v24, v6
	s_and_b64 s[2:3], s[2:3], s[26:27]
	v_cmp_lt_i32_e64 s[6:7], -1, v0
	v_writelane_b32 v62, s2, 58
	v_or_b32_e32 v28, v13, v10
	v_writelane_b32 v62, s3, 59
	s_and_b64 s[2:3], s[42:43], s[6:7]
	v_or_b32_e32 v0, v28, v6
	;; [unrolled: 7-line block ×4, first 2 shown]
	s_and_b64 s[2:3], s[2:3], s[26:27]
	v_cmp_lt_i32_e64 s[16:17], -1, v0
	v_or_b32_e32 v26, v13, v9
	v_writelane_b32 v63, s2, 0
	v_or_b32_e32 v0, v26, v6
	v_or_b32_e32 v27, v16, v9
	v_writelane_b32 v63, s3, 1
	s_and_b64 s[2:3], s[36:37], s[16:17]
	v_cmp_lt_i32_e64 s[20:21], -1, v0
	v_or_b32_e32 v0, v27, v6
	s_and_b64 s[2:3], s[2:3], s[26:27]
	v_cmp_lt_i32_e64 s[22:23], -1, v0
	v_or_b32_e32 v0, v21, v15
	v_writelane_b32 v63, s2, 2
	v_cmp_lt_i32_e64 s[12:13], -1, v0
	v_or_b32_e32 v0, v22, v15
	v_writelane_b32 v63, s3, 3
	s_and_b64 s[2:3], s[28:29], s[20:21]
	v_cmp_lt_i32_e64 s[14:15], -1, v0
	v_or_b32_e32 v0, v25, v15
	s_and_b64 s[2:3], s[2:3], s[26:27]
	v_cmp_lt_i32_e64 s[18:19], -1, v0
	v_or_b32_e32 v0, v24, v15
	v_writelane_b32 v63, s2, 4
	v_readlane_b32 s68, v62, 17
	v_cmp_lt_i32_e64 s[24:25], -1, v0
	v_writelane_b32 v63, s3, 5
	s_and_b64 s[2:3], s[0:1], s[22:23]
	v_mul_lo_u32 v0, v58, s68
	s_and_b64 s[2:3], s[2:3], s[26:27]
	v_writelane_b32 v63, s2, 6
	v_writelane_b32 v63, s3, 7
	v_or_b32_e32 v2, v28, v15
	v_readlane_b32 s2, v62, 14
	v_cmp_lt_i32_e32 vcc, -1, v2
	v_mul_lo_u32 v2, s2, v0
	v_cmp_gt_i32_e64 s[6:7], s69, v15
	s_and_b64 s[8:9], s[48:49], s[12:13]
	v_or_b32_e32 v3, v29, v15
	s_and_b64 s[8:9], s[8:9], s[6:7]
	v_cmp_lt_i32_e64 s[2:3], -1, v3
	v_or_b32_e32 v3, v23, v15
	v_writelane_b32 v63, s8, 8
	v_cmp_lt_i32_e64 s[4:5], -1, v3
	v_ashrrev_i32_e32 v3, 31, v2
	v_writelane_b32 v63, s9, 9
	s_and_b64 s[8:9], s[46:47], s[14:15]
	v_readlane_b32 s10, v62, 18
	v_lshlrev_b64 v[2:3], 1, v[2:3]
	s_and_b64 s[76:77], s[8:9], s[6:7]
	s_and_b64 s[8:9], s[44:45], s[18:19]
	v_readlane_b32 s11, v62, 19
	s_and_b64 s[78:79], s[8:9], s[6:7]
	s_and_b64 s[8:9], s[42:43], s[24:25]
	v_mov_b32_e32 v30, s11
	s_and_b64 s[90:91], s[8:9], s[6:7]
	s_and_b64 s[8:9], s[40:41], vcc
	v_add_co_u32_e32 v2, vcc, s10, v2
	v_addc_co_u32_e32 v3, vcc, v30, v3, vcc
	v_ashrrev_i32_e32 v30, 31, v14
	v_xor_b32_e32 v30, s50, v30
	v_or_b32_e32 v31, v26, v15
	s_and_b64 s[2:3], s[38:39], s[2:3]
	v_xor_b32_e32 v20, v20, v30
	v_or_b32_e32 v32, v27, v15
	s_and_b64 s[62:63], s[2:3], s[6:7]
	s_and_b64 s[2:3], s[36:37], s[4:5]
	v_cmp_lt_i32_e32 vcc, -1, v31
	v_sub_u32_e32 v20, v20, v30
	s_and_b64 s[64:65], s[2:3], s[6:7]
	s_and_b64 s[2:3], s[28:29], vcc
	v_cmp_lt_i32_e32 vcc, -1, v32
	v_or_b32_e32 v21, v21, v20
	s_and_b64 s[66:67], s[2:3], s[6:7]
	s_and_b64 s[2:3], s[0:1], vcc
	v_cmp_lt_i32_e32 vcc, -1, v21
	v_or_b32_e32 v21, v22, v20
	;; [unrolled: 4-line block ×3, first 2 shown]
	s_and_b64 s[10:11], s[46:47], vcc
	v_cmp_lt_i32_e32 vcc, -1, v21
	v_or_b32_e32 v21, v24, v20
	s_and_b64 s[12:13], s[44:45], vcc
	v_cmp_lt_i32_e32 vcc, -1, v21
	v_or_b32_e32 v21, v28, v20
	;; [unrolled: 3-line block ×3, first 2 shown]
	s_and_b64 s[16:17], s[40:41], vcc
	v_cmp_lt_i32_e32 vcc, -1, v21
	v_mul_lo_u32 v21, v6, s52
	v_mul_lo_u32 v22, v4, s53
	;; [unrolled: 1-line block ×5, first 2 shown]
	s_and_b64 s[18:19], s[38:39], vcc
	v_cmp_eq_u32_e32 vcc, v21, v7
	v_mul_lo_u32 v7, v20, s52
	s_and_b64 s[72:73], s[2:3], s[6:7]
	v_cmp_eq_u32_e64 s[2:3], v22, v8
	v_cmp_eq_u32_e64 s[4:5], v24, v12
	;; [unrolled: 1-line block ×3, first 2 shown]
	s_and_b64 s[20:21], vcc, s[2:3]
	s_and_b64 s[22:23], vcc, s[4:5]
	s_and_b64 s[24:25], vcc, s[6:7]
	v_cmp_eq_u32_e32 vcc, v28, v17
	s_and_b64 s[26:27], vcc, s[2:3]
	s_and_b64 s[30:31], vcc, s[4:5]
	;; [unrolled: 1-line block ×3, first 2 shown]
	v_cmp_eq_u32_e32 vcc, v7, v14
	v_or_b32_e32 v7, v23, v20
	s_and_b64 s[42:43], vcc, s[2:3]
	s_and_b64 s[48:49], vcc, s[4:5]
	;; [unrolled: 1-line block ×3, first 2 shown]
	v_cmp_lt_i32_e32 vcc, -1, v7
	v_or_b32_e32 v7, v26, v20
	s_and_b64 s[2:3], s[36:37], vcc
	v_cmp_lt_i32_e32 vcc, -1, v7
	v_or_b32_e32 v7, v27, v20
	s_and_b64 s[4:5], s[28:29], vcc
	v_cmp_lt_i32_e32 vcc, -1, v7
	v_mul_lo_u32 v7, v5, s54
	v_mul_lo_u32 v8, v13, s54
	;; [unrolled: 1-line block ×3, first 2 shown]
	s_and_b64 s[6:7], s[0:1], vcc
	v_cmp_eq_u32_e64 s[50:51], v7, v1
	v_mul_lo_u32 v1, v6, s70
	v_cmp_eq_u32_e64 s[52:53], v8, v18
	v_cmp_eq_u32_e64 s[54:55], v11, v19
	v_cmp_gt_i32_e32 vcc, s69, v20
	v_add_u32_e32 v6, v4, v1
	v_mul_lo_u32 v8, v6, s71
	v_add_u32_e32 v12, v10, v1
	v_mul_lo_u32 v14, v12, s71
	v_add_u32_e32 v1, v9, v1
	v_add_u32_e32 v6, v5, v8
	v_ashrrev_i32_e32 v7, 31, v6
	v_lshlrev_b64 v[6:7], 1, v[6:7]
	v_add_u32_e32 v11, v13, v8
	v_ashrrev_i32_e32 v12, 31, v11
	buffer_store_dword v6, off, s[96:99], 0 offset:16 ; 4-byte Folded Spill
	s_nop 0
	buffer_store_dword v7, off, s[96:99], 0 offset:20 ; 4-byte Folded Spill
	v_lshlrev_b64 v[6:7], 1, v[11:12]
	v_add_u32_e32 v17, v16, v8
	v_ashrrev_i32_e32 v18, 31, v17
	buffer_store_dword v6, off, s[96:99], 0 offset:24 ; 4-byte Folded Spill
	s_nop 0
	buffer_store_dword v7, off, s[96:99], 0 offset:28 ; 4-byte Folded Spill
	;; [unrolled: 6-line block ×4, first 2 shown]
	v_mul_lo_u32 v1, v1, s71
	v_lshlrev_b64 v[6:7], 1, v[23:24]
	v_add_u32_e32 v25, v16, v14
	v_ashrrev_i32_e32 v26, 31, v25
	buffer_store_dword v6, off, s[96:99], 0 offset:48 ; 4-byte Folded Spill
	s_nop 0
	buffer_store_dword v7, off, s[96:99], 0 offset:52 ; 4-byte Folded Spill
	v_lshlrev_b64 v[6:7], 1, v[25:26]
	v_mul_lo_u32 v8, v15, s70
	v_add_u32_e32 v14, v5, v1
	v_ashrrev_i32_e32 v15, 31, v14
	buffer_store_dword v6, off, s[96:99], 0 offset:56 ; 4-byte Folded Spill
	s_nop 0
	buffer_store_dword v7, off, s[96:99], 0 offset:60 ; 4-byte Folded Spill
	v_lshlrev_b64 v[6:7], 1, v[14:15]
	v_add_u32_e32 v27, v13, v1
	v_add_u32_e32 v19, v4, v8
	v_ashrrev_i32_e32 v28, 31, v27
	buffer_store_dword v6, off, s[96:99], 0 offset:64 ; 4-byte Folded Spill
	s_nop 0
	buffer_store_dword v7, off, s[96:99], 0 offset:68 ; 4-byte Folded Spill
	v_mul_lo_u32 v19, v19, s71
	v_lshlrev_b64 v[6:7], 1, v[27:28]
	v_add_u32_e32 v29, v16, v1
	v_ashrrev_i32_e32 v30, 31, v29
	buffer_store_dword v6, off, s[96:99], 0 offset:72 ; 4-byte Folded Spill
	s_nop 0
	buffer_store_dword v7, off, s[96:99], 0 offset:76 ; 4-byte Folded Spill
	v_lshlrev_b64 v[6:7], 1, v[29:30]
	v_add_u32_e32 v31, v5, v19
	v_ashrrev_i32_e32 v32, 31, v31
	buffer_store_dword v6, off, s[96:99], 0 offset:80 ; 4-byte Folded Spill
	s_nop 0
	buffer_store_dword v7, off, s[96:99], 0 offset:84 ; 4-byte Folded Spill
	v_lshlrev_b64 v[6:7], 1, v[31:32]
	v_add_u32_e32 v33, v13, v19
	v_add_u32_e32 v1, v10, v8
	v_ashrrev_i32_e32 v34, 31, v33
	buffer_store_dword v6, off, s[96:99], 0 offset:88 ; 4-byte Folded Spill
	s_nop 0
	buffer_store_dword v7, off, s[96:99], 0 offset:92 ; 4-byte Folded Spill
	v_mul_lo_u32 v1, v1, s71
	v_lshlrev_b64 v[6:7], 1, v[33:34]
	v_add_u32_e32 v35, v16, v19
	v_ashrrev_i32_e32 v36, 31, v35
	buffer_store_dword v6, off, s[96:99], 0 offset:96 ; 4-byte Folded Spill
	s_nop 0
	buffer_store_dword v7, off, s[96:99], 0 offset:100 ; 4-byte Folded Spill
	v_lshlrev_b64 v[6:7], 1, v[35:36]
	v_add_u32_e32 v37, v5, v1
	v_ashrrev_i32_e32 v38, 31, v37
	buffer_store_dword v6, off, s[96:99], 0 offset:104 ; 4-byte Folded Spill
	s_nop 0
	buffer_store_dword v7, off, s[96:99], 0 offset:108 ; 4-byte Folded Spill
	v_lshlrev_b64 v[6:7], 1, v[37:38]
	v_add_u32_e32 v39, v13, v1
	v_ashrrev_i32_e32 v40, 31, v39
	v_add_u32_e32 v8, v9, v8
	buffer_store_dword v6, off, s[96:99], 0 offset:112 ; 4-byte Folded Spill
	s_nop 0
	buffer_store_dword v7, off, s[96:99], 0 offset:116 ; 4-byte Folded Spill
	v_mul_lo_u32 v8, v8, s71
	v_lshlrev_b64 v[6:7], 1, v[39:40]
	v_add_u32_e32 v41, v16, v1
	v_ashrrev_i32_e32 v42, 31, v41
	buffer_store_dword v6, off, s[96:99], 0 offset:120 ; 4-byte Folded Spill
	s_nop 0
	buffer_store_dword v7, off, s[96:99], 0 offset:124 ; 4-byte Folded Spill
	v_lshlrev_b64 v[6:7], 1, v[41:42]
	v_mul_lo_u32 v1, v20, s70
	v_add_u32_e32 v19, v5, v8
	v_ashrrev_i32_e32 v20, 31, v19
	buffer_store_dword v6, off, s[96:99], 0 offset:128 ; 4-byte Folded Spill
	s_nop 0
	buffer_store_dword v7, off, s[96:99], 0 offset:132 ; 4-byte Folded Spill
	v_lshlrev_b64 v[6:7], 1, v[19:20]
	v_add_u32_e32 v43, v13, v8
	v_add_u32_e32 v4, v4, v1
	v_ashrrev_i32_e32 v44, 31, v43
	buffer_store_dword v6, off, s[96:99], 0 offset:136 ; 4-byte Folded Spill
	s_nop 0
	buffer_store_dword v7, off, s[96:99], 0 offset:140 ; 4-byte Folded Spill
	v_mul_lo_u32 v4, v4, s71
	v_lshlrev_b64 v[6:7], 1, v[43:44]
	v_add_u32_e32 v45, v16, v8
	v_ashrrev_i32_e32 v46, 31, v45
	buffer_store_dword v6, off, s[96:99], 0 offset:144 ; 4-byte Folded Spill
	s_nop 0
	buffer_store_dword v7, off, s[96:99], 0 offset:148 ; 4-byte Folded Spill
	v_lshlrev_b64 v[6:7], 1, v[45:46]
	v_add_u32_e32 v47, v5, v4
	v_ashrrev_i32_e32 v48, 31, v47
	buffer_store_dword v6, off, s[96:99], 0 offset:152 ; 4-byte Folded Spill
	s_nop 0
	buffer_store_dword v7, off, s[96:99], 0 offset:156 ; 4-byte Folded Spill
	v_lshlrev_b64 v[6:7], 1, v[47:48]
	v_add_u32_e32 v49, v13, v4
	v_ashrrev_i32_e32 v50, 31, v49
	v_add_u32_e32 v8, v10, v1
	buffer_store_dword v6, off, s[96:99], 0 offset:160 ; 4-byte Folded Spill
	s_nop 0
	buffer_store_dword v7, off, s[96:99], 0 offset:164 ; 4-byte Folded Spill
	v_mul_lo_u32 v10, v8, s71
	v_lshlrev_b64 v[6:7], 1, v[49:50]
	v_add_u32_e32 v8, v16, v4
	v_add_u32_e32 v1, v9, v1
	v_ashrrev_i32_e32 v9, 31, v8
	buffer_store_dword v6, off, s[96:99], 0 offset:168 ; 4-byte Folded Spill
	s_nop 0
	buffer_store_dword v7, off, s[96:99], 0 offset:172 ; 4-byte Folded Spill
	v_lshlrev_b64 v[6:7], 1, v[8:9]
	v_add_u32_e32 v51, v5, v10
	v_ashrrev_i32_e32 v52, 31, v51
	buffer_store_dword v6, off, s[96:99], 0 offset:176 ; 4-byte Folded Spill
	s_nop 0
	buffer_store_dword v7, off, s[96:99], 0 offset:180 ; 4-byte Folded Spill
	v_mul_lo_u32 v1, v1, s71
	v_lshlrev_b64 v[6:7], 1, v[51:52]
	v_add_u32_e32 v53, v13, v10
	v_ashrrev_i32_e32 v54, 31, v53
	buffer_store_dword v6, off, s[96:99], 0 offset:184 ; 4-byte Folded Spill
	s_nop 0
	buffer_store_dword v7, off, s[96:99], 0 offset:188 ; 4-byte Folded Spill
	v_lshlrev_b64 v[6:7], 1, v[53:54]
	v_add_u32_e32 v55, v16, v10
	v_add_u32_e32 v4, v5, v1
	v_ashrrev_i32_e32 v56, 31, v55
	v_ashrrev_i32_e32 v5, 31, v4
	buffer_store_dword v6, off, s[96:99], 0 offset:192 ; 4-byte Folded Spill
	s_nop 0
	buffer_store_dword v7, off, s[96:99], 0 offset:196 ; 4-byte Folded Spill
	v_lshlrev_b64 v[6:7], 1, v[55:56]
	v_lshlrev_b64 v[4:5], 1, v[4:5]
	v_add_u32_e32 v57, v13, v1
	s_mov_b64 s[70:71], s[58:59]
	v_mov_b32_e32 v10, v58
	v_ashrrev_i32_e32 v58, 31, v57
	buffer_store_dword v6, off, s[96:99], 0 offset:200 ; 4-byte Folded Spill
	s_nop 0
	buffer_store_dword v7, off, s[96:99], 0 offset:204 ; 4-byte Folded Spill
	buffer_store_dword v4, off, s[96:99], 0 offset:208 ; 4-byte Folded Spill
	s_nop 0
	buffer_store_dword v5, off, s[96:99], 0 offset:212 ; 4-byte Folded Spill
	s_and_b64 s[74:75], s[8:9], vcc
	s_and_b64 s[84:85], s[10:11], vcc
	;; [unrolled: 1-line block ×9, first 2 shown]
	s_and_b64 vcc, s[20:21], s[50:51]
	s_and_b64 s[2:3], s[20:21], s[52:53]
	s_and_b64 s[4:5], s[20:21], s[54:55]
	;; [unrolled: 1-line block ×26, first 2 shown]
	v_lshlrev_b64 v[4:5], 1, v[57:58]
	s_mul_i32 s56, s71, s68
	v_add_u32_e32 v59, v16, v1
	v_mul_lo_u32 v58, s56, v10
	v_ashrrev_i32_e32 v60, 31, v59
	buffer_store_dword v4, off, s[96:99], 0 offset:216 ; 4-byte Folded Spill
	s_nop 0
	buffer_store_dword v5, off, s[96:99], 0 offset:220 ; 4-byte Folded Spill
	v_lshlrev_b64 v[4:5], 1, v[59:60]
	s_mov_b64 s[58:59], 0
	v_add_u32_e32 v1, s68, v0
	v_mov_b32_e32 v60, 0
	buffer_store_dword v4, off, s[96:99], 0 offset:224 ; 4-byte Folded Spill
	s_nop 0
	buffer_store_dword v5, off, s[96:99], 0 offset:228 ; 4-byte Folded Spill
	buffer_store_dword v1, off, s[96:99], 0 offset:12 ; 4-byte Folded Spill
	;; [unrolled: 1-line block ×3, first 2 shown]
	s_branch .LBB30_5
.LBB30_4:                               ;   in Loop: Header=BB30_5 Depth=2
	s_or_b64 exec, exec, s[68:69]
	buffer_load_dword v4, off, s[96:99], 0  ; 4-byte Folded Reload
	s_waitcnt vmcnt(26)
	v_lshlrev_b32_e32 v5, 16, v6
	v_add_co_u32_e64 v2, s[56:57], 54, v2
	v_addc_co_u32_e64 v3, s[56:57], 0, v3, s[56:57]
	v_add_u32_e32 v0, 1, v0
	v_add_u32_e32 v58, s71, v58
	s_waitcnt vmcnt(0)
	v_lshlrev_b32_e32 v4, 16, v4
	v_fma_f32 v4, v59, v4, v60
	v_cndmask_b32_e32 v4, v60, v4, vcc
	v_fma_f32 v5, v8, v5, v4
	v_cndmask_b32_e64 v4, v4, v5, s[2:3]
	v_lshlrev_b32_e32 v5, 16, v1
	buffer_load_dword v1, off, s[96:99], 0 offset:12 ; 4-byte Folded Reload
	v_fma_f32 v5, v7, v5, v4
	v_cndmask_b32_e64 v4, v4, v5, s[4:5]
	v_lshlrev_b32_e32 v5, 16, v61
	v_fma_f32 v5, v12, v5, v4
	v_cndmask_b32_e64 v4, v4, v5, s[6:7]
	v_lshlrev_b32_e32 v5, 16, v13
	;; [unrolled: 3-line block ×24, first 2 shown]
	v_fma_f32 v5, v55, v5, v4
	v_cndmask_b32_e64 v60, v4, v5, s[54:55]
	s_waitcnt vmcnt(0)
	v_cmp_ge_i32_e64 s[56:57], v0, v1
	s_or_b64 s[58:59], s[56:57], s[58:59]
	s_andn2_b64 exec, exec, s[58:59]
	s_cbranch_execz .LBB30_59
.LBB30_5:                               ;   Parent Loop BB30_2 Depth=1
                                        ; =>  This Inner Loop Header: Depth=2
	buffer_load_dword v6, off, s[96:99], 0 offset:4 ; 4-byte Folded Reload
	v_ashrrev_i32_e32 v59, 31, v58
	v_lshlrev_b64 v[4:5], 1, v[58:59]
	global_load_ushort v1, v[2:3], off
	v_mov_b32_e32 v59, 0
	s_waitcnt vmcnt(1)
	v_add_co_u32_e64 v4, s[56:57], v6, v4
	buffer_load_dword v6, off, s[96:99], 0 offset:8 ; 4-byte Folded Reload
	s_waitcnt vmcnt(0)
	v_addc_co_u32_e64 v5, s[56:57], v6, v5, s[56:57]
	buffer_store_dword v1, off, s[96:99], 0 ; 4-byte Folded Spill
	s_mov_b64 s[68:69], exec
	v_readlane_b32 s56, v62, 54
	v_readlane_b32 s57, v62, 55
	s_and_b64 s[56:57], s[68:69], s[56:57]
	s_mov_b64 exec, s[56:57]
	s_cbranch_execz .LBB30_7
; %bb.6:                                ;   in Loop: Header=BB30_5 Depth=2
	buffer_load_dword v6, off, s[96:99], 0 offset:16 ; 4-byte Folded Reload
	buffer_load_dword v7, off, s[96:99], 0 offset:20 ; 4-byte Folded Reload
	s_waitcnt vmcnt(1)
	v_add_co_u32_e64 v6, s[56:57], v4, v6
	s_waitcnt vmcnt(0)
	v_addc_co_u32_e64 v7, s[56:57], v5, v7, s[56:57]
	global_load_ushort v6, v[6:7], off
	s_waitcnt vmcnt(0)
	v_lshlrev_b32_e32 v59, 16, v6
.LBB30_7:                               ;   in Loop: Header=BB30_5 Depth=2
	s_or_b64 exec, exec, s[68:69]
	global_load_ushort v6, v[2:3], off offset:2
	v_mov_b32_e32 v7, 0
	v_mov_b32_e32 v8, 0
	s_mov_b64 s[68:69], exec
	v_readlane_b32 s56, v62, 56
	v_readlane_b32 s57, v62, 57
	s_and_b64 s[56:57], s[68:69], s[56:57]
	s_mov_b64 exec, s[56:57]
	s_cbranch_execz .LBB30_9
; %bb.8:                                ;   in Loop: Header=BB30_5 Depth=2
	buffer_load_dword v8, off, s[96:99], 0 offset:24 ; 4-byte Folded Reload
	buffer_load_dword v9, off, s[96:99], 0 offset:28 ; 4-byte Folded Reload
	s_waitcnt vmcnt(1)
	v_add_co_u32_e64 v8, s[56:57], v4, v8
	s_waitcnt vmcnt(0)
	v_addc_co_u32_e64 v9, s[56:57], v5, v9, s[56:57]
	global_load_ushort v8, v[8:9], off
	s_waitcnt vmcnt(0)
	v_lshlrev_b32_e32 v8, 16, v8
.LBB30_9:                               ;   in Loop: Header=BB30_5 Depth=2
	s_or_b64 exec, exec, s[68:69]
	global_load_ushort v1, v[2:3], off offset:4
	s_mov_b64 s[68:69], exec
	v_readlane_b32 s56, v62, 58
	v_readlane_b32 s57, v62, 59
	s_and_b64 s[56:57], s[68:69], s[56:57]
	s_mov_b64 exec, s[56:57]
	s_cbranch_execz .LBB30_11
; %bb.10:                               ;   in Loop: Header=BB30_5 Depth=2
	buffer_load_dword v10, off, s[96:99], 0 offset:32 ; 4-byte Folded Reload
	buffer_load_dword v11, off, s[96:99], 0 offset:36 ; 4-byte Folded Reload
	s_waitcnt vmcnt(1)
	v_add_co_u32_e64 v10, s[56:57], v4, v10
	s_waitcnt vmcnt(0)
	v_addc_co_u32_e64 v11, s[56:57], v5, v11, s[56:57]
	global_load_ushort v7, v[10:11], off
	s_waitcnt vmcnt(0)
	v_lshlrev_b32_e32 v7, 16, v7
.LBB30_11:                              ;   in Loop: Header=BB30_5 Depth=2
	s_or_b64 exec, exec, s[68:69]
	global_load_ushort v61, v[2:3], off offset:6
	v_mov_b32_e32 v11, 0
	v_mov_b32_e32 v12, 0
	s_mov_b64 s[68:69], exec
	v_readlane_b32 s56, v62, 60
	v_readlane_b32 s57, v62, 61
	s_and_b64 s[56:57], s[68:69], s[56:57]
	s_mov_b64 exec, s[56:57]
	s_cbranch_execz .LBB30_13
; %bb.12:                               ;   in Loop: Header=BB30_5 Depth=2
	buffer_load_dword v12, off, s[96:99], 0 offset:40 ; 4-byte Folded Reload
	buffer_load_dword v13, off, s[96:99], 0 offset:44 ; 4-byte Folded Reload
	s_waitcnt vmcnt(1)
	v_add_co_u32_e64 v12, s[56:57], v4, v12
	s_waitcnt vmcnt(0)
	v_addc_co_u32_e64 v13, s[56:57], v5, v13, s[56:57]
	global_load_ushort v12, v[12:13], off
	s_waitcnt vmcnt(0)
	v_lshlrev_b32_e32 v12, 16, v12
.LBB30_13:                              ;   in Loop: Header=BB30_5 Depth=2
	s_or_b64 exec, exec, s[68:69]
	global_load_ushort v13, v[2:3], off offset:8
	s_mov_b64 s[68:69], exec
	v_readlane_b32 s56, v62, 62
	v_readlane_b32 s57, v62, 63
	s_and_b64 s[56:57], s[68:69], s[56:57]
	s_mov_b64 exec, s[56:57]
	s_cbranch_execz .LBB30_15
; %bb.14:                               ;   in Loop: Header=BB30_5 Depth=2
	buffer_load_dword v14, off, s[96:99], 0 offset:48 ; 4-byte Folded Reload
	buffer_load_dword v15, off, s[96:99], 0 offset:52 ; 4-byte Folded Reload
	s_waitcnt vmcnt(1)
	v_add_co_u32_e64 v14, s[56:57], v4, v14
	s_waitcnt vmcnt(0)
	v_addc_co_u32_e64 v15, s[56:57], v5, v15, s[56:57]
	global_load_ushort v11, v[14:15], off
	s_waitcnt vmcnt(0)
	v_lshlrev_b32_e32 v11, 16, v11
.LBB30_15:                              ;   in Loop: Header=BB30_5 Depth=2
	s_or_b64 exec, exec, s[68:69]
	global_load_ushort v14, v[2:3], off offset:10
	v_mov_b32_e32 v15, 0
	v_mov_b32_e32 v16, 0
	s_mov_b64 s[68:69], exec
	v_readlane_b32 s56, v63, 0
	v_readlane_b32 s57, v63, 1
	s_and_b64 s[56:57], s[68:69], s[56:57]
	s_mov_b64 exec, s[56:57]
	s_cbranch_execz .LBB30_17
; %bb.16:                               ;   in Loop: Header=BB30_5 Depth=2
	buffer_load_dword v16, off, s[96:99], 0 offset:56 ; 4-byte Folded Reload
	buffer_load_dword v17, off, s[96:99], 0 offset:60 ; 4-byte Folded Reload
	s_waitcnt vmcnt(1)
	v_add_co_u32_e64 v16, s[56:57], v4, v16
	s_waitcnt vmcnt(0)
	v_addc_co_u32_e64 v17, s[56:57], v5, v17, s[56:57]
	global_load_ushort v16, v[16:17], off
	s_waitcnt vmcnt(0)
	v_lshlrev_b32_e32 v16, 16, v16
.LBB30_17:                              ;   in Loop: Header=BB30_5 Depth=2
	;; [unrolled: 40-line block ×4, first 2 shown]
	s_or_b64 exec, exec, s[68:69]
	global_load_ushort v25, v[2:3], off offset:20
	s_and_saveexec_b64 s[68:69], s[76:77]
	s_cbranch_execz .LBB30_27
; %bb.26:                               ;   in Loop: Header=BB30_5 Depth=2
	buffer_load_dword v26, off, s[96:99], 0 offset:96 ; 4-byte Folded Reload
	buffer_load_dword v27, off, s[96:99], 0 offset:100 ; 4-byte Folded Reload
	s_waitcnt vmcnt(1)
	v_add_co_u32_e64 v26, s[56:57], v4, v26
	s_waitcnt vmcnt(0)
	v_addc_co_u32_e64 v27, s[56:57], v5, v27, s[56:57]
	global_load_ushort v23, v[26:27], off
	s_waitcnt vmcnt(0)
	v_lshlrev_b32_e32 v23, 16, v23
.LBB30_27:                              ;   in Loop: Header=BB30_5 Depth=2
	s_or_b64 exec, exec, s[68:69]
	global_load_ushort v26, v[2:3], off offset:22
	v_mov_b32_e32 v27, 0
	v_mov_b32_e32 v28, 0
	s_and_saveexec_b64 s[68:69], s[78:79]
	s_cbranch_execz .LBB30_29
; %bb.28:                               ;   in Loop: Header=BB30_5 Depth=2
	buffer_load_dword v28, off, s[96:99], 0 offset:104 ; 4-byte Folded Reload
	buffer_load_dword v29, off, s[96:99], 0 offset:108 ; 4-byte Folded Reload
	s_waitcnt vmcnt(1)
	v_add_co_u32_e64 v28, s[56:57], v4, v28
	s_waitcnt vmcnt(0)
	v_addc_co_u32_e64 v29, s[56:57], v5, v29, s[56:57]
	global_load_ushort v28, v[28:29], off
	s_waitcnt vmcnt(0)
	v_lshlrev_b32_e32 v28, 16, v28
.LBB30_29:                              ;   in Loop: Header=BB30_5 Depth=2
	s_or_b64 exec, exec, s[68:69]
	global_load_ushort v29, v[2:3], off offset:24
	s_and_saveexec_b64 s[68:69], s[90:91]
	s_cbranch_execz .LBB30_31
; %bb.30:                               ;   in Loop: Header=BB30_5 Depth=2
	buffer_load_dword v30, off, s[96:99], 0 offset:112 ; 4-byte Folded Reload
	buffer_load_dword v31, off, s[96:99], 0 offset:116 ; 4-byte Folded Reload
	s_waitcnt vmcnt(1)
	v_add_co_u32_e64 v30, s[56:57], v4, v30
	s_waitcnt vmcnt(0)
	v_addc_co_u32_e64 v31, s[56:57], v5, v31, s[56:57]
	global_load_ushort v27, v[30:31], off
	s_waitcnt vmcnt(0)
	v_lshlrev_b32_e32 v27, 16, v27
.LBB30_31:                              ;   in Loop: Header=BB30_5 Depth=2
	s_or_b64 exec, exec, s[68:69]
	global_load_ushort v30, v[2:3], off offset:26
	v_mov_b32_e32 v31, 0
	v_mov_b32_e32 v32, 0
	s_and_saveexec_b64 s[68:69], s[60:61]
	s_cbranch_execz .LBB30_33
; %bb.32:                               ;   in Loop: Header=BB30_5 Depth=2
	buffer_load_dword v32, off, s[96:99], 0 offset:120 ; 4-byte Folded Reload
	buffer_load_dword v33, off, s[96:99], 0 offset:124 ; 4-byte Folded Reload
	s_waitcnt vmcnt(1)
	v_add_co_u32_e64 v32, s[56:57], v4, v32
	s_waitcnt vmcnt(0)
	v_addc_co_u32_e64 v33, s[56:57], v5, v33, s[56:57]
	global_load_ushort v32, v[32:33], off
	s_waitcnt vmcnt(0)
	v_lshlrev_b32_e32 v32, 16, v32
.LBB30_33:                              ;   in Loop: Header=BB30_5 Depth=2
	;; [unrolled: 32-line block ×8, first 2 shown]
	s_or_b64 exec, exec, s[68:69]
	global_load_ushort v57, v[2:3], off offset:52
	s_and_saveexec_b64 s[68:69], s[86:87]
	s_cbranch_execz .LBB30_4
; %bb.58:                               ;   in Loop: Header=BB30_5 Depth=2
	buffer_load_dword v9, off, s[96:99], 0 offset:224 ; 4-byte Folded Reload
	buffer_load_dword v10, off, s[96:99], 0 offset:228 ; 4-byte Folded Reload
	s_waitcnt vmcnt(1)
	v_add_co_u32_e64 v4, s[56:57], v4, v9
	s_waitcnt vmcnt(0)
	v_addc_co_u32_e64 v5, s[56:57], v5, v10, s[56:57]
	global_load_ushort v4, v[4:5], off
	s_waitcnt vmcnt(0)
	v_lshlrev_b32_e32 v55, 16, v4
	s_branch .LBB30_4
.LBB30_59:                              ;   in Loop: Header=BB30_2 Depth=1
	s_or_b64 exec, exec, s[58:59]
	buffer_load_dword v9, off, s[96:99], 0 offset:240 ; 4-byte Folded Reload
	buffer_load_dword v8, off, s[96:99], 0 offset:244 ; 4-byte Folded Reload
	;; [unrolled: 1-line block ×5, first 2 shown]
	v_readlane_b32 s16, v62, 50
	v_readlane_b32 s17, v62, 51
	s_branch .LBB30_61
.LBB30_60:                              ;   in Loop: Header=BB30_2 Depth=1
	v_mov_b32_e32 v60, 0
.LBB30_61:                              ;   in Loop: Header=BB30_2 Depth=1
	v_readlane_b32 s8, v62, 52
	v_readlane_b32 s9, v62, 53
; %bb.62:                               ;   in Loop: Header=BB30_2 Depth=1
	v_bfe_u32 v0, v60, 16, 1
	s_movk_i32 s0, 0x7fff
	v_add3_u32 v1, v60, v0, s0
	s_waitcnt vmcnt(0)
	v_mul_lo_u32 v0, v5, s17
	v_cmp_o_f32_e32 vcc, v60, v60
	v_mov_b32_e32 v2, 0x7fc0
	v_readlane_b32 s4, v62, 20
	v_cndmask_b32_sdwa v4, v2, v1, vcc dst_sel:DWORD dst_unused:UNUSED_PAD src0_sel:DWORD src1_sel:WORD_1
	v_ashrrev_i32_e32 v1, 31, v0
	v_mul_lo_u32 v2, s4, v58
	v_lshlrev_b64 v[0:1], 1, v[0:1]
	v_readlane_b32 s0, v62, 15
	v_readlane_b32 s1, v62, 16
	v_mov_b32_e32 v3, s1
	v_add_co_u32_e32 v5, vcc, s0, v0
	v_readlane_b32 s5, v62, 21
	v_addc_co_u32_e32 v6, vcc, v3, v1, vcc
	v_ashrrev_i32_e32 v3, 31, v2
	v_lshlrev_b64 v[0:1], 1, v[2:3]
	v_mul_lo_u32 v2, s5, v7
	v_readlane_b32 s6, v62, 22
	v_add_co_u32_e32 v5, vcc, v5, v0
	v_ashrrev_i32_e32 v3, 31, v2
	v_addc_co_u32_e32 v6, vcc, v6, v1, vcc
	v_lshlrev_b64 v[0:1], 1, v[2:3]
	v_mul_lo_u32 v2, s6, v8
	v_readlane_b32 s7, v62, 23
	v_add_co_u32_e32 v5, vcc, v5, v0
	v_ashrrev_i32_e32 v3, 31, v2
	v_addc_co_u32_e32 v6, vcc, v6, v1, vcc
	v_lshlrev_b64 v[0:1], 1, v[2:3]
	v_mul_lo_u32 v2, s7, v9
	v_add_co_u32_e32 v5, vcc, v5, v0
	v_addc_co_u32_e32 v6, vcc, v6, v1, vcc
	v_ashrrev_i32_e32 v3, 31, v2
	v_lshlrev_b64 v[0:1], 1, v[2:3]
	buffer_load_dword v2, off, s[96:99], 0 offset:232 ; 4-byte Folded Reload
	buffer_load_dword v3, off, s[96:99], 0 offset:236 ; 4-byte Folded Reload
	v_readlane_b32 s0, v62, 24
	v_add_co_u32_e64 v0, s[2:3], v5, v0
	v_addc_co_u32_e64 v1, s[2:3], v6, v1, s[2:3]
	global_store_short v[0:1], v4, off
	s_waitcnt vmcnt(2)
	v_add_co_u32_e32 v2, vcc, s0, v2
	v_readlane_b32 s0, v62, 5
	s_waitcnt vmcnt(1)
	v_addc_co_u32_e32 v3, vcc, 0, v3, vcc
	v_readlane_b32 s1, v62, 6
	v_cmp_le_i64_e32 vcc, s[0:1], v[2:3]
	s_or_b64 s[8:9], vcc, s[8:9]
	s_andn2_b64 exec, exec, s[8:9]
	s_cbranch_execnz .LBB30_2
.LBB30_63:
	s_endpgm
	.section	.rodata,"a",@progbits
	.p2align	6, 0x0
	.amdhsa_kernel _ZN2at6native12_GLOBAL__N_143conv_depthwise3d_cuda_backward_input_kernelIN3c108BFloat16EfLi3ELi3ELi3ELin1ELin1ELin1ELin1ELin1ELin1EEEvN5torch10headeronly6detail27GenericPackedTensorAccessorINS7_14TensorAccessorINS3_8ArrayRefIlEEKT_Lm4ENS6_16DefaultPtrTraitsEiEENS_6detail16IndexBoundsCheckILm5EiEESD_Lm5ESE_iEENS8_INS9_ISB_SC_Lm4ESE_iEESI_SC_Lm5ESE_iEESJ_iiiiiiiii
		.amdhsa_group_segment_fixed_size 0
		.amdhsa_private_segment_fixed_size 292
		.amdhsa_kernarg_size 440
		.amdhsa_user_sgpr_count 6
		.amdhsa_user_sgpr_private_segment_buffer 1
		.amdhsa_user_sgpr_dispatch_ptr 0
		.amdhsa_user_sgpr_queue_ptr 0
		.amdhsa_user_sgpr_kernarg_segment_ptr 1
		.amdhsa_user_sgpr_dispatch_id 0
		.amdhsa_user_sgpr_flat_scratch_init 0
		.amdhsa_user_sgpr_private_segment_size 0
		.amdhsa_uses_dynamic_stack 0
		.amdhsa_system_sgpr_private_segment_wavefront_offset 1
		.amdhsa_system_sgpr_workgroup_id_x 1
		.amdhsa_system_sgpr_workgroup_id_y 0
		.amdhsa_system_sgpr_workgroup_id_z 0
		.amdhsa_system_sgpr_workgroup_info 0
		.amdhsa_system_vgpr_workitem_id 0
		.amdhsa_next_free_vgpr 64
		.amdhsa_next_free_sgpr 100
		.amdhsa_reserve_vcc 1
		.amdhsa_reserve_flat_scratch 0
		.amdhsa_float_round_mode_32 0
		.amdhsa_float_round_mode_16_64 0
		.amdhsa_float_denorm_mode_32 3
		.amdhsa_float_denorm_mode_16_64 3
		.amdhsa_dx10_clamp 1
		.amdhsa_ieee_mode 1
		.amdhsa_fp16_overflow 0
		.amdhsa_exception_fp_ieee_invalid_op 0
		.amdhsa_exception_fp_denorm_src 0
		.amdhsa_exception_fp_ieee_div_zero 0
		.amdhsa_exception_fp_ieee_overflow 0
		.amdhsa_exception_fp_ieee_underflow 0
		.amdhsa_exception_fp_ieee_inexact 0
		.amdhsa_exception_int_div_zero 0
	.end_amdhsa_kernel
	.section	.text._ZN2at6native12_GLOBAL__N_143conv_depthwise3d_cuda_backward_input_kernelIN3c108BFloat16EfLi3ELi3ELi3ELin1ELin1ELin1ELin1ELin1ELin1EEEvN5torch10headeronly6detail27GenericPackedTensorAccessorINS7_14TensorAccessorINS3_8ArrayRefIlEEKT_Lm4ENS6_16DefaultPtrTraitsEiEENS_6detail16IndexBoundsCheckILm5EiEESD_Lm5ESE_iEENS8_INS9_ISB_SC_Lm4ESE_iEESI_SC_Lm5ESE_iEESJ_iiiiiiiii,"axG",@progbits,_ZN2at6native12_GLOBAL__N_143conv_depthwise3d_cuda_backward_input_kernelIN3c108BFloat16EfLi3ELi3ELi3ELin1ELin1ELin1ELin1ELin1ELin1EEEvN5torch10headeronly6detail27GenericPackedTensorAccessorINS7_14TensorAccessorINS3_8ArrayRefIlEEKT_Lm4ENS6_16DefaultPtrTraitsEiEENS_6detail16IndexBoundsCheckILm5EiEESD_Lm5ESE_iEENS8_INS9_ISB_SC_Lm4ESE_iEESI_SC_Lm5ESE_iEESJ_iiiiiiiii,comdat
.Lfunc_end30:
	.size	_ZN2at6native12_GLOBAL__N_143conv_depthwise3d_cuda_backward_input_kernelIN3c108BFloat16EfLi3ELi3ELi3ELin1ELin1ELin1ELin1ELin1ELin1EEEvN5torch10headeronly6detail27GenericPackedTensorAccessorINS7_14TensorAccessorINS3_8ArrayRefIlEEKT_Lm4ENS6_16DefaultPtrTraitsEiEENS_6detail16IndexBoundsCheckILm5EiEESD_Lm5ESE_iEENS8_INS9_ISB_SC_Lm4ESE_iEESI_SC_Lm5ESE_iEESJ_iiiiiiiii, .Lfunc_end30-_ZN2at6native12_GLOBAL__N_143conv_depthwise3d_cuda_backward_input_kernelIN3c108BFloat16EfLi3ELi3ELi3ELin1ELin1ELin1ELin1ELin1ELin1EEEvN5torch10headeronly6detail27GenericPackedTensorAccessorINS7_14TensorAccessorINS3_8ArrayRefIlEEKT_Lm4ENS6_16DefaultPtrTraitsEiEENS_6detail16IndexBoundsCheckILm5EiEESD_Lm5ESE_iEENS8_INS9_ISB_SC_Lm4ESE_iEESI_SC_Lm5ESE_iEESJ_iiiiiiiii
                                        ; -- End function
	.set _ZN2at6native12_GLOBAL__N_143conv_depthwise3d_cuda_backward_input_kernelIN3c108BFloat16EfLi3ELi3ELi3ELin1ELin1ELin1ELin1ELin1ELin1EEEvN5torch10headeronly6detail27GenericPackedTensorAccessorINS7_14TensorAccessorINS3_8ArrayRefIlEEKT_Lm4ENS6_16DefaultPtrTraitsEiEENS_6detail16IndexBoundsCheckILm5EiEESD_Lm5ESE_iEENS8_INS9_ISB_SC_Lm4ESE_iEESI_SC_Lm5ESE_iEESJ_iiiiiiiii.num_vgpr, 64
	.set _ZN2at6native12_GLOBAL__N_143conv_depthwise3d_cuda_backward_input_kernelIN3c108BFloat16EfLi3ELi3ELi3ELin1ELin1ELin1ELin1ELin1ELin1EEEvN5torch10headeronly6detail27GenericPackedTensorAccessorINS7_14TensorAccessorINS3_8ArrayRefIlEEKT_Lm4ENS6_16DefaultPtrTraitsEiEENS_6detail16IndexBoundsCheckILm5EiEESD_Lm5ESE_iEENS8_INS9_ISB_SC_Lm4ESE_iEESI_SC_Lm5ESE_iEESJ_iiiiiiiii.num_agpr, 0
	.set _ZN2at6native12_GLOBAL__N_143conv_depthwise3d_cuda_backward_input_kernelIN3c108BFloat16EfLi3ELi3ELi3ELin1ELin1ELin1ELin1ELin1ELin1EEEvN5torch10headeronly6detail27GenericPackedTensorAccessorINS7_14TensorAccessorINS3_8ArrayRefIlEEKT_Lm4ENS6_16DefaultPtrTraitsEiEENS_6detail16IndexBoundsCheckILm5EiEESD_Lm5ESE_iEENS8_INS9_ISB_SC_Lm4ESE_iEESI_SC_Lm5ESE_iEESJ_iiiiiiiii.numbered_sgpr, 100
	.set _ZN2at6native12_GLOBAL__N_143conv_depthwise3d_cuda_backward_input_kernelIN3c108BFloat16EfLi3ELi3ELi3ELin1ELin1ELin1ELin1ELin1ELin1EEEvN5torch10headeronly6detail27GenericPackedTensorAccessorINS7_14TensorAccessorINS3_8ArrayRefIlEEKT_Lm4ENS6_16DefaultPtrTraitsEiEENS_6detail16IndexBoundsCheckILm5EiEESD_Lm5ESE_iEENS8_INS9_ISB_SC_Lm4ESE_iEESI_SC_Lm5ESE_iEESJ_iiiiiiiii.num_named_barrier, 0
	.set _ZN2at6native12_GLOBAL__N_143conv_depthwise3d_cuda_backward_input_kernelIN3c108BFloat16EfLi3ELi3ELi3ELin1ELin1ELin1ELin1ELin1ELin1EEEvN5torch10headeronly6detail27GenericPackedTensorAccessorINS7_14TensorAccessorINS3_8ArrayRefIlEEKT_Lm4ENS6_16DefaultPtrTraitsEiEENS_6detail16IndexBoundsCheckILm5EiEESD_Lm5ESE_iEENS8_INS9_ISB_SC_Lm4ESE_iEESI_SC_Lm5ESE_iEESJ_iiiiiiiii.private_seg_size, 292
	.set _ZN2at6native12_GLOBAL__N_143conv_depthwise3d_cuda_backward_input_kernelIN3c108BFloat16EfLi3ELi3ELi3ELin1ELin1ELin1ELin1ELin1ELin1EEEvN5torch10headeronly6detail27GenericPackedTensorAccessorINS7_14TensorAccessorINS3_8ArrayRefIlEEKT_Lm4ENS6_16DefaultPtrTraitsEiEENS_6detail16IndexBoundsCheckILm5EiEESD_Lm5ESE_iEENS8_INS9_ISB_SC_Lm4ESE_iEESI_SC_Lm5ESE_iEESJ_iiiiiiiii.uses_vcc, 1
	.set _ZN2at6native12_GLOBAL__N_143conv_depthwise3d_cuda_backward_input_kernelIN3c108BFloat16EfLi3ELi3ELi3ELin1ELin1ELin1ELin1ELin1ELin1EEEvN5torch10headeronly6detail27GenericPackedTensorAccessorINS7_14TensorAccessorINS3_8ArrayRefIlEEKT_Lm4ENS6_16DefaultPtrTraitsEiEENS_6detail16IndexBoundsCheckILm5EiEESD_Lm5ESE_iEENS8_INS9_ISB_SC_Lm4ESE_iEESI_SC_Lm5ESE_iEESJ_iiiiiiiii.uses_flat_scratch, 0
	.set _ZN2at6native12_GLOBAL__N_143conv_depthwise3d_cuda_backward_input_kernelIN3c108BFloat16EfLi3ELi3ELi3ELin1ELin1ELin1ELin1ELin1ELin1EEEvN5torch10headeronly6detail27GenericPackedTensorAccessorINS7_14TensorAccessorINS3_8ArrayRefIlEEKT_Lm4ENS6_16DefaultPtrTraitsEiEENS_6detail16IndexBoundsCheckILm5EiEESD_Lm5ESE_iEENS8_INS9_ISB_SC_Lm4ESE_iEESI_SC_Lm5ESE_iEESJ_iiiiiiiii.has_dyn_sized_stack, 0
	.set _ZN2at6native12_GLOBAL__N_143conv_depthwise3d_cuda_backward_input_kernelIN3c108BFloat16EfLi3ELi3ELi3ELin1ELin1ELin1ELin1ELin1ELin1EEEvN5torch10headeronly6detail27GenericPackedTensorAccessorINS7_14TensorAccessorINS3_8ArrayRefIlEEKT_Lm4ENS6_16DefaultPtrTraitsEiEENS_6detail16IndexBoundsCheckILm5EiEESD_Lm5ESE_iEENS8_INS9_ISB_SC_Lm4ESE_iEESI_SC_Lm5ESE_iEESJ_iiiiiiiii.has_recursion, 0
	.set _ZN2at6native12_GLOBAL__N_143conv_depthwise3d_cuda_backward_input_kernelIN3c108BFloat16EfLi3ELi3ELi3ELin1ELin1ELin1ELin1ELin1ELin1EEEvN5torch10headeronly6detail27GenericPackedTensorAccessorINS7_14TensorAccessorINS3_8ArrayRefIlEEKT_Lm4ENS6_16DefaultPtrTraitsEiEENS_6detail16IndexBoundsCheckILm5EiEESD_Lm5ESE_iEENS8_INS9_ISB_SC_Lm4ESE_iEESI_SC_Lm5ESE_iEESJ_iiiiiiiii.has_indirect_call, 0
	.section	.AMDGPU.csdata,"",@progbits
; Kernel info:
; codeLenInByte = 8612
; TotalNumSgprs: 104
; NumVgprs: 64
; ScratchSize: 292
; MemoryBound: 0
; FloatMode: 240
; IeeeMode: 1
; LDSByteSize: 0 bytes/workgroup (compile time only)
; SGPRBlocks: 12
; VGPRBlocks: 15
; NumSGPRsForWavesPerEU: 104
; NumVGPRsForWavesPerEU: 64
; Occupancy: 4
; WaveLimiterHint : 0
; COMPUTE_PGM_RSRC2:SCRATCH_EN: 1
; COMPUTE_PGM_RSRC2:USER_SGPR: 6
; COMPUTE_PGM_RSRC2:TRAP_HANDLER: 0
; COMPUTE_PGM_RSRC2:TGID_X_EN: 1
; COMPUTE_PGM_RSRC2:TGID_Y_EN: 0
; COMPUTE_PGM_RSRC2:TGID_Z_EN: 0
; COMPUTE_PGM_RSRC2:TIDIG_COMP_CNT: 0
	.section	.text._ZN2at6native12_GLOBAL__N_143conv_depthwise3d_cuda_backward_input_kernelIN3c108BFloat16EfLin1ELin1ELin1ELin1ELin1ELin1ELin1ELin1ELin1EEEvN5torch10headeronly6detail27GenericPackedTensorAccessorINS7_14TensorAccessorINS3_8ArrayRefIlEEKT_Lm4ENS6_16DefaultPtrTraitsEiEENS_6detail16IndexBoundsCheckILm5EiEESD_Lm5ESE_iEENS8_INS9_ISB_SC_Lm4ESE_iEESI_SC_Lm5ESE_iEESJ_iiiiiiiii,"axG",@progbits,_ZN2at6native12_GLOBAL__N_143conv_depthwise3d_cuda_backward_input_kernelIN3c108BFloat16EfLin1ELin1ELin1ELin1ELin1ELin1ELin1ELin1ELin1EEEvN5torch10headeronly6detail27GenericPackedTensorAccessorINS7_14TensorAccessorINS3_8ArrayRefIlEEKT_Lm4ENS6_16DefaultPtrTraitsEiEENS_6detail16IndexBoundsCheckILm5EiEESD_Lm5ESE_iEENS8_INS9_ISB_SC_Lm4ESE_iEESI_SC_Lm5ESE_iEESJ_iiiiiiiii,comdat
	.globl	_ZN2at6native12_GLOBAL__N_143conv_depthwise3d_cuda_backward_input_kernelIN3c108BFloat16EfLin1ELin1ELin1ELin1ELin1ELin1ELin1ELin1ELin1EEEvN5torch10headeronly6detail27GenericPackedTensorAccessorINS7_14TensorAccessorINS3_8ArrayRefIlEEKT_Lm4ENS6_16DefaultPtrTraitsEiEENS_6detail16IndexBoundsCheckILm5EiEESD_Lm5ESE_iEENS8_INS9_ISB_SC_Lm4ESE_iEESI_SC_Lm5ESE_iEESJ_iiiiiiiii ; -- Begin function _ZN2at6native12_GLOBAL__N_143conv_depthwise3d_cuda_backward_input_kernelIN3c108BFloat16EfLin1ELin1ELin1ELin1ELin1ELin1ELin1ELin1ELin1EEEvN5torch10headeronly6detail27GenericPackedTensorAccessorINS7_14TensorAccessorINS3_8ArrayRefIlEEKT_Lm4ENS6_16DefaultPtrTraitsEiEENS_6detail16IndexBoundsCheckILm5EiEESD_Lm5ESE_iEENS8_INS9_ISB_SC_Lm4ESE_iEESI_SC_Lm5ESE_iEESJ_iiiiiiiii
	.p2align	8
	.type	_ZN2at6native12_GLOBAL__N_143conv_depthwise3d_cuda_backward_input_kernelIN3c108BFloat16EfLin1ELin1ELin1ELin1ELin1ELin1ELin1ELin1ELin1EEEvN5torch10headeronly6detail27GenericPackedTensorAccessorINS7_14TensorAccessorINS3_8ArrayRefIlEEKT_Lm4ENS6_16DefaultPtrTraitsEiEENS_6detail16IndexBoundsCheckILm5EiEESD_Lm5ESE_iEENS8_INS9_ISB_SC_Lm4ESE_iEESI_SC_Lm5ESE_iEESJ_iiiiiiiii,@function
_ZN2at6native12_GLOBAL__N_143conv_depthwise3d_cuda_backward_input_kernelIN3c108BFloat16EfLin1ELin1ELin1ELin1ELin1ELin1ELin1ELin1ELin1EEEvN5torch10headeronly6detail27GenericPackedTensorAccessorINS7_14TensorAccessorINS3_8ArrayRefIlEEKT_Lm4ENS6_16DefaultPtrTraitsEiEENS_6detail16IndexBoundsCheckILm5EiEESD_Lm5ESE_iEENS8_INS9_ISB_SC_Lm4ESE_iEESI_SC_Lm5ESE_iEESJ_iiiiiiiii: ; @_ZN2at6native12_GLOBAL__N_143conv_depthwise3d_cuda_backward_input_kernelIN3c108BFloat16EfLin1ELin1ELin1ELin1ELin1ELin1ELin1ELin1ELin1EEEvN5torch10headeronly6detail27GenericPackedTensorAccessorINS7_14TensorAccessorINS3_8ArrayRefIlEEKT_Lm4ENS6_16DefaultPtrTraitsEiEENS_6detail16IndexBoundsCheckILm5EiEESD_Lm5ESE_iEENS8_INS9_ISB_SC_Lm4ESE_iEESI_SC_Lm5ESE_iEESJ_iiiiiiiii
; %bb.0:
	s_load_dwordx4 s[20:23], s[4:5], 0x38
	s_load_dwordx2 s[34:35], s[4:5], 0x48
	s_load_dword s0, s[4:5], 0xc4
	v_mov_b32_e32 v1, 0
	v_mov_b32_e32 v3, s6
	s_waitcnt lgkmcnt(0)
	s_abs_i32 s33, s21
	v_cvt_f32_u32_e32 v2, s33
	s_add_u32 s2, s4, 0xb8
	s_addc_u32 s3, s5, 0
	s_and_b32 s6, s0, 0xffff
	v_rcp_iflag_f32_e32 v2, v2
	v_mad_u64_u32 v[0:1], s[0:1], s6, v3, v[0:1]
	s_mul_i32 s40, s35, s20
	v_mul_f32_e32 v2, 0x4f7ffffe, v2
	v_cvt_u32_f32_e32 v2, v2
	s_ashr_i32 s41, s40, 31
	v_cmp_gt_i64_e32 vcc, s[40:41], v[0:1]
	v_readfirstlane_b32 s0, v2
	s_and_saveexec_b64 s[8:9], vcc
	s_cbranch_execz .LBB31_19
; %bb.1:
	s_load_dwordx4 s[24:27], s[4:5], 0xc
	s_load_dwordx2 s[42:43], s[4:5], 0x0
	s_sub_i32 s7, 0, s33
	s_mul_i32 s9, s7, s0
	s_mul_hi_u32 s9, s0, s9
	s_waitcnt lgkmcnt(0)
	s_abs_i32 s8, s24
	s_add_i32 s0, s0, s9
	s_mul_hi_u32 s0, s8, s0
	s_mul_i32 s9, s0, s33
	s_ashr_i32 s20, s21, 31
	s_ashr_i32 s1, s24, 31
	s_sub_i32 s8, s8, s9
	s_xor_b32 s1, s1, s20
	s_add_i32 s9, s0, 1
	s_sub_i32 s10, s8, s33
	s_cmp_ge_u32 s8, s33
	s_cselect_b32 s0, s9, s0
	s_load_dwordx8 s[12:19], s[4:5], 0x90
	s_load_dword s24, s[4:5], 0xb0
	s_load_dwordx4 s[28:31], s[4:5], 0x70
	s_cselect_b32 s8, s10, s8
	s_add_i32 s9, s0, 1
	s_cmp_ge_u32 s8, s33
	s_cselect_b32 s0, s9, s0
	s_xor_b32 s0, s0, s1
	s_waitcnt lgkmcnt(0)
	s_sub_i32 s31, s0, s1
	s_cmp_gt_i32 s28, 0
	s_cselect_b64 s[44:45], -1, 0
	s_cmp_gt_i32 s29, 0
	s_cselect_b64 s[46:47], -1, 0
	;; [unrolled: 2-line block ×4, first 2 shown]
	s_abs_i32 s65, s34
	v_cvt_f32_u32_e32 v3, s65
	s_abs_i32 s67, s23
	v_cvt_f32_u32_e32 v4, s67
	s_load_dword s8, s[2:3], 0x0
	s_load_dwordx2 s[50:51], s[4:5], 0x1c
                                        ; kill: killed $sgpr2 killed $sgpr3
	s_load_dwordx2 s[52:53], s[4:5], 0x30
	v_rcp_iflag_f32_e32 v3, v3
	s_sub_i32 s2, 0, s65
	s_abs_i32 s69, s22
	v_rcp_iflag_f32_e32 v4, v4
	v_mul_f32_e32 v3, 0x4f7ffffe, v3
	v_cvt_u32_f32_e32 v3, v3
	v_cvt_f32_u32_e32 v6, s69
	v_mul_f32_e32 v4, 0x4f7ffffe, v4
	v_cvt_u32_f32_e32 v7, v4
	v_mul_lo_u32 v5, s2, v3
	v_rcp_iflag_f32_e32 v6, v6
	s_sub_i32 s2, 0, s67
	s_abs_i32 s71, s12
	v_mul_hi_u32 v5, v3, v5
	v_cvt_f32_u32_e32 v9, s71
	s_abs_i32 s73, s13
	s_abs_i32 s74, s14
	v_add_u32_e32 v4, v3, v5
	v_mul_f32_e32 v5, 0x4f7ffffe, v6
	v_mul_lo_u32 v3, s2, v7
	v_cvt_u32_f32_e32 v6, v5
	s_sub_i32 s2, 0, s69
	s_load_dword s64, s[4:5], 0x7c
	v_mul_hi_u32 v3, v7, v3
	v_mul_lo_u32 v8, s2, v6
	s_sub_i32 s2, 0, s71
	s_load_dwordx2 s[54:55], s[4:5], 0x60
	s_load_dwordx4 s[36:39], s[4:5], 0x50
	v_add_u32_e32 v5, v7, v3
	v_mul_hi_u32 v3, v6, v8
	v_mul_lo_u32 v7, s7, v2
	v_rcp_iflag_f32_e32 v8, v9
	v_cvt_f32_u32_e32 v9, s74
	v_add_u32_e32 v6, v6, v3
	v_mul_hi_u32 v3, v2, v7
	v_mul_f32_e32 v7, 0x4f7ffffe, v8
	v_cvt_u32_f32_e32 v8, v7
	v_cvt_f32_u32_e32 v7, s73
	s_waitcnt lgkmcnt(0)
	s_mul_i32 s66, s8, s6
	s_ashr_i32 s68, s34, 31
	v_mul_lo_u32 v10, s2, v8
	v_rcp_iflag_f32_e32 v11, v7
	v_add_u32_e32 v7, v2, v3
	v_rcp_iflag_f32_e32 v2, v9
	s_sub_i32 s2, 0, s73
	v_mul_f32_e32 v9, 0x4f7ffffe, v11
	v_cvt_u32_f32_e32 v9, v9
	v_mul_f32_e32 v2, 0x4f7ffffe, v2
	v_cvt_u32_f32_e32 v2, v2
	v_mul_hi_u32 v3, v8, v10
	v_mul_lo_u32 v10, s2, v9
	s_sub_i32 s2, 0, s74
	v_mul_lo_u32 v11, s2, v2
	v_add_u32_e32 v8, v8, v3
	v_mul_hi_u32 v10, v9, v10
	s_ashr_i32 s70, s23, 31
	v_mul_hi_u32 v3, v2, v11
	s_ashr_i32 s72, s22, 31
	v_add_u32_e32 v9, v9, v10
	s_ashr_i32 s75, s12, 31
	v_add_u32_e32 v10, v2, v3
	v_cndmask_b32_e64 v2, 0, 1, s[0:1]
	s_ashr_i32 s76, s13, 31
	s_ashr_i32 s77, s14, 31
	s_mov_b64 s[56:57], 0
	v_mov_b32_e32 v11, 0x7fc0
	s_movk_i32 s78, 0x7fff
	v_cmp_ne_u32_e64 s[0:1], 1, v2
	s_branch .LBB31_4
.LBB31_2:                               ;   in Loop: Header=BB31_4 Depth=1
	s_or_b64 exec, exec, s[58:59]
.LBB31_3:                               ;   in Loop: Header=BB31_4 Depth=1
	v_bfe_u32 v2, v21, 16, 1
	v_add3_u32 v3, v21, v2, s78
	v_mul_lo_u32 v2, v16, s35
	v_cmp_o_f32_e32 vcc, v21, v21
	v_cndmask_b32_sdwa v17, v11, v3, vcc dst_sel:DWORD dst_unused:UNUSED_PAD src0_sel:DWORD src1_sel:WORD_1
	v_mul_lo_u32 v15, s36, v15
	v_ashrrev_i32_e32 v3, 31, v2
	v_lshlrev_b64 v[2:3], 1, v[2:3]
	v_mov_b32_e32 v16, s53
	v_add_co_u32_e32 v18, vcc, s52, v2
	v_mul_lo_u32 v14, s37, v14
	v_addc_co_u32_e32 v19, vcc, v16, v3, vcc
	v_ashrrev_i32_e32 v16, 31, v15
	v_lshlrev_b64 v[2:3], 1, v[15:16]
	v_mul_lo_u32 v13, s38, v13
	v_add_co_u32_e32 v16, vcc, v18, v2
	v_ashrrev_i32_e32 v15, 31, v14
	v_addc_co_u32_e32 v18, vcc, v19, v3, vcc
	v_lshlrev_b64 v[2:3], 1, v[14:15]
	v_ashrrev_i32_e32 v14, 31, v13
	v_add_co_u32_e32 v15, vcc, v16, v2
	v_addc_co_u32_e32 v16, vcc, v18, v3, vcc
	v_lshlrev_b64 v[2:3], 1, v[13:14]
	v_mul_lo_u32 v12, s39, v12
	v_add_co_u32_e32 v14, vcc, v15, v2
	v_addc_co_u32_e32 v15, vcc, v16, v3, vcc
	v_ashrrev_i32_e32 v13, 31, v12
	v_add_co_u32_e32 v0, vcc, s66, v0
	v_lshlrev_b64 v[2:3], 1, v[12:13]
	v_addc_co_u32_e32 v1, vcc, 0, v1, vcc
	v_cmp_le_i64_e32 vcc, s[40:41], v[0:1]
	v_add_co_u32_e64 v2, s[2:3], v14, v2
	v_addc_co_u32_e64 v3, s[2:3], v15, v3, s[2:3]
	s_or_b64 s[56:57], vcc, s[56:57]
	global_store_short v[2:3], v17, off
	s_andn2_b64 exec, exec, s[56:57]
	s_cbranch_execz .LBB31_19
.LBB31_4:                               ; =>This Loop Header: Depth=1
                                        ;     Child Loop BB31_7 Depth 2
                                        ;       Child Loop BB31_10 Depth 3
                                        ;         Child Loop BB31_13 Depth 4
                                        ;           Child Loop BB31_16 Depth 5
	v_sub_u32_e32 v2, 0, v0
	v_max_i32_e32 v2, v0, v2
	v_mul_hi_u32 v3, v2, v4
	v_ashrrev_i32_e32 v13, 31, v0
	v_xor_b32_e32 v13, s68, v13
	v_mul_lo_u32 v12, v3, s65
	v_add_u32_e32 v14, 1, v3
	v_sub_u32_e32 v2, v2, v12
	v_cmp_le_u32_e32 vcc, s65, v2
	v_subrev_u32_e32 v12, s65, v2
	v_cndmask_b32_e32 v3, v3, v14, vcc
	v_cndmask_b32_e32 v2, v2, v12, vcc
	v_add_u32_e32 v12, 1, v3
	v_cmp_le_u32_e32 vcc, s65, v2
	v_cndmask_b32_e32 v2, v3, v12, vcc
	v_xor_b32_e32 v2, v2, v13
	v_sub_u32_e32 v2, v2, v13
	v_sub_u32_e32 v3, 0, v2
	v_max_i32_e32 v3, v2, v3
	v_mul_hi_u32 v12, v3, v5
	v_ashrrev_i32_e32 v14, 31, v2
	v_xor_b32_e32 v14, s70, v14
	v_mul_lo_u32 v13, v12, s67
	v_add_u32_e32 v15, 1, v12
	v_sub_u32_e32 v3, v3, v13
	v_cmp_le_u32_e32 vcc, s67, v3
	v_subrev_u32_e32 v13, s67, v3
	v_cndmask_b32_e32 v12, v12, v15, vcc
	v_cndmask_b32_e32 v3, v3, v13, vcc
	v_add_u32_e32 v13, 1, v12
	v_cmp_le_u32_e32 vcc, s67, v3
	v_cndmask_b32_e32 v3, v12, v13, vcc
	v_xor_b32_e32 v3, v3, v14
	v_sub_u32_e32 v3, v3, v14
	v_sub_u32_e32 v12, 0, v3
	v_max_i32_e32 v12, v3, v12
	v_mul_hi_u32 v13, v12, v6
	v_ashrrev_i32_e32 v16, 31, v3
	v_xor_b32_e32 v16, s72, v16
	v_mul_lo_u32 v14, v2, s34
	v_mul_lo_u32 v15, v13, s69
	v_add_u32_e32 v17, 1, v13
	v_sub_u32_e32 v12, v12, v15
	v_cmp_le_u32_e32 vcc, s69, v12
	v_subrev_u32_e32 v15, s69, v12
	v_cndmask_b32_e32 v13, v13, v17, vcc
	v_cndmask_b32_e32 v12, v12, v15, vcc
	v_add_u32_e32 v15, 1, v13
	v_cmp_le_u32_e32 vcc, s69, v12
	v_cndmask_b32_e32 v12, v13, v15, vcc
	v_xor_b32_e32 v12, v12, v16
	v_sub_u32_e32 v15, v12, v16
	v_sub_u32_e32 v12, 0, v15
	v_max_i32_e32 v13, v15, v12
	v_mul_hi_u32 v16, v13, v7
	v_ashrrev_i32_e32 v19, 31, v15
	v_xor_b32_e32 v19, s20, v19
	v_sub_u32_e32 v12, v0, v14
	v_mul_lo_u32 v17, v16, s33
	v_mul_lo_u32 v14, v3, s23
	;; [unrolled: 1-line block ×3, first 2 shown]
	v_sub_u32_e32 v13, v13, v17
	v_add_u32_e32 v17, 1, v16
	v_cmp_le_u32_e32 vcc, s33, v13
	v_cndmask_b32_e32 v16, v16, v17, vcc
	v_subrev_u32_e32 v17, s33, v13
	v_cndmask_b32_e32 v13, v13, v17, vcc
	v_add_u32_e32 v17, 1, v16
	v_cmp_le_u32_e32 vcc, s33, v13
	v_cndmask_b32_e32 v13, v16, v17, vcc
	v_xor_b32_e32 v13, v13, v19
	v_sub_u32_e32 v16, v13, v19
	v_mul_lo_u32 v17, v16, s21
	v_sub_u32_e32 v13, v2, v14
	v_sub_u32_e32 v14, v3, v18
	s_and_b64 vcc, exec, s[0:1]
	v_sub_u32_e32 v15, v15, v17
	s_cbranch_vccnz .LBB31_18
; %bb.5:                                ;   in Loop: Header=BB31_4 Depth=1
	v_mul_lo_u32 v17, v15, s31
	v_mul_lo_u32 v23, s50, v16
	v_mov_b32_e32 v21, s55
	v_add_u32_e32 v18, s17, v12
	v_mul_lo_u32 v2, s64, v17
	v_ashrrev_i32_e32 v24, 31, v23
	v_lshlrev_b64 v[23:24], 1, v[23:24]
	v_add_u32_e32 v19, s16, v13
	v_ashrrev_i32_e32 v3, 31, v2
	v_lshlrev_b64 v[2:3], 1, v[2:3]
	v_add_u32_e32 v20, s15, v14
	v_add_co_u32_e32 v2, vcc, s54, v2
	v_addc_co_u32_e32 v3, vcc, v21, v3, vcc
	v_mov_b32_e32 v21, s43
	v_add_co_u32_e32 v23, vcc, s42, v23
	v_add_u32_e32 v22, s31, v17
	v_addc_co_u32_e32 v24, vcc, v21, v24, vcc
	v_mov_b32_e32 v21, 0
	s_mov_b64 s[58:59], 0
	s_branch .LBB31_7
.LBB31_6:                               ;   in Loop: Header=BB31_7 Depth=2
	v_add_u32_e32 v17, 1, v17
	v_cmp_ge_i32_e32 vcc, v17, v22
	s_or_b64 s[58:59], vcc, s[58:59]
	s_andn2_b64 exec, exec, s[58:59]
	s_cbranch_execz .LBB31_2
.LBB31_7:                               ;   Parent Loop BB31_4 Depth=1
                                        ; =>  This Loop Header: Depth=2
                                        ;       Child Loop BB31_10 Depth 3
                                        ;         Child Loop BB31_13 Depth 4
                                        ;           Child Loop BB31_16 Depth 5
	s_andn2_b64 vcc, exec, s[44:45]
	s_cbranch_vccnz .LBB31_6
; %bb.8:                                ;   in Loop: Header=BB31_7 Depth=2
	v_mul_lo_u32 v25, s51, v17
	s_mov_b32 s79, 0
	v_ashrrev_i32_e32 v26, 31, v25
	v_lshlrev_b64 v[25:26], 1, v[25:26]
	v_add_co_u32_e32 v25, vcc, v23, v25
	v_addc_co_u32_e32 v26, vcc, v24, v26, vcc
	s_branch .LBB31_10
.LBB31_9:                               ;   in Loop: Header=BB31_10 Depth=3
	s_add_i32 s79, s79, 1
	s_cmp_eq_u32 s79, s28
	s_cbranch_scc1 .LBB31_6
.LBB31_10:                              ;   Parent Loop BB31_4 Depth=1
                                        ;     Parent Loop BB31_7 Depth=2
                                        ; =>    This Loop Header: Depth=3
                                        ;         Child Loop BB31_13 Depth 4
                                        ;           Child Loop BB31_16 Depth 5
	s_andn2_b64 vcc, exec, s[46:47]
	s_cbranch_vccnz .LBB31_9
; %bb.11:                               ;   in Loop: Header=BB31_10 Depth=3
	s_mul_i32 s2, s18, s79
	v_subrev_u32_e32 v28, s2, v20
	v_sub_u32_e32 v27, 0, v28
	v_max_i32_e32 v27, v28, v27
	v_mul_hi_u32 v29, v27, v8
	v_ashrrev_i32_e32 v31, 31, v28
	v_xor_b32_e32 v31, s75, v31
	s_mov_b32 s80, 0
	v_mul_lo_u32 v30, v29, s71
	v_add_u32_e32 v32, 1, v29
	v_sub_u32_e32 v27, v27, v30
	v_cmp_le_u32_e32 vcc, s71, v27
	v_subrev_u32_e32 v30, s71, v27
	v_cndmask_b32_e32 v29, v29, v32, vcc
	v_cndmask_b32_e32 v27, v27, v30, vcc
	v_add_u32_e32 v30, 1, v29
	v_cmp_le_u32_e32 vcc, s71, v27
	v_cndmask_b32_e32 v27, v29, v30, vcc
	v_xor_b32_e32 v27, v27, v31
	v_sub_u32_e32 v29, v27, v31
	v_mul_lo_u32 v30, v29, s12
	v_mul_lo_u32 v27, v29, s26
	v_cmp_lt_i32_e64 s[2:3], -1, v29
	v_cmp_gt_i32_e64 s[4:5], s25, v29
	v_cmp_eq_u32_e64 s[6:7], v30, v28
	s_branch .LBB31_13
.LBB31_12:                              ;   in Loop: Header=BB31_13 Depth=4
	s_add_i32 s80, s80, 1
	s_cmp_eq_u32 s80, s29
	s_cbranch_scc1 .LBB31_9
.LBB31_13:                              ;   Parent Loop BB31_4 Depth=1
                                        ;     Parent Loop BB31_7 Depth=2
                                        ;       Parent Loop BB31_10 Depth=3
                                        ; =>      This Loop Header: Depth=4
                                        ;           Child Loop BB31_16 Depth 5
	s_andn2_b64 vcc, exec, s[48:49]
	s_cbranch_vccnz .LBB31_12
; %bb.14:                               ;   in Loop: Header=BB31_13 Depth=4
	s_mul_i32 s8, s19, s80
	v_subrev_u32_e32 v29, s8, v19
	v_sub_u32_e32 v28, 0, v29
	v_max_i32_e32 v28, v29, v28
	v_mul_hi_u32 v30, v28, v9
	v_ashrrev_i32_e32 v32, 31, v29
	v_xor_b32_e32 v32, s76, v32
	s_mov_b32 s81, s30
	v_mul_lo_u32 v31, v30, s73
	v_add_u32_e32 v33, 1, v30
	v_sub_u32_e32 v28, v28, v31
	v_cmp_le_u32_e32 vcc, s73, v28
	v_subrev_u32_e32 v31, s73, v28
	v_cndmask_b32_e32 v30, v30, v33, vcc
	v_cndmask_b32_e32 v28, v28, v31, vcc
	v_add_u32_e32 v31, 1, v30
	v_cmp_le_u32_e32 vcc, s73, v28
	v_cndmask_b32_e32 v28, v30, v31, vcc
	v_xor_b32_e32 v28, v28, v32
	v_sub_u32_e32 v28, v28, v32
	v_mul_lo_u32 v30, v28, s13
	v_cmp_lt_i32_e32 vcc, -1, v28
	v_cmp_gt_i32_e64 s[8:9], s26, v28
	v_add_u32_e32 v28, v28, v27
	v_mul_lo_u32 v28, v28, s27
	v_cmp_eq_u32_e64 s[10:11], v30, v29
	s_and_b64 s[60:61], s[6:7], s[10:11]
	v_mov_b32_e32 v29, v18
	s_branch .LBB31_16
.LBB31_15:                              ;   in Loop: Header=BB31_16 Depth=5
	s_or_b64 exec, exec, s[62:63]
	v_mul_lo_u32 v31, v31, s14
	v_add_co_u32_e64 v2, s[10:11], 2, v2
	v_addc_co_u32_e64 v3, s[10:11], 0, v3, s[10:11]
	s_waitcnt vmcnt(0)
	v_lshlrev_b32_e32 v30, 16, v30
	v_cmp_eq_u32_e64 s[10:11], v29, v31
	v_fma_f32 v30, v32, v30, v21
	s_and_b64 s[10:11], s[60:61], s[10:11]
	s_add_i32 s81, s81, -1
	v_cndmask_b32_e64 v21, v21, v30, s[10:11]
	s_cmp_eq_u32 s81, 0
	v_subrev_u32_e32 v29, s24, v29
	s_cbranch_scc1 .LBB31_12
.LBB31_16:                              ;   Parent Loop BB31_4 Depth=1
                                        ;     Parent Loop BB31_7 Depth=2
                                        ;       Parent Loop BB31_10 Depth=3
                                        ;         Parent Loop BB31_13 Depth=4
                                        ; =>        This Inner Loop Header: Depth=5
	global_load_ushort v30, v[2:3], off
	v_sub_u32_e32 v31, 0, v29
	v_max_i32_e32 v31, v29, v31
	v_mul_hi_u32 v32, v31, v10
	v_ashrrev_i32_e32 v34, 31, v29
	v_xor_b32_e32 v34, s77, v34
	v_mul_lo_u32 v33, v32, s74
	v_sub_u32_e32 v31, v31, v33
	v_add_u32_e32 v33, 1, v32
	v_cmp_le_u32_e64 s[10:11], s74, v31
	v_cndmask_b32_e64 v32, v32, v33, s[10:11]
	v_subrev_u32_e32 v33, s74, v31
	v_cndmask_b32_e64 v31, v31, v33, s[10:11]
	v_add_u32_e32 v33, 1, v32
	v_cmp_le_u32_e64 s[10:11], s74, v31
	v_cndmask_b32_e64 v31, v32, v33, s[10:11]
	v_xor_b32_e32 v31, v31, v34
	v_sub_u32_e32 v31, v31, v34
	v_cmp_lt_i32_e64 s[10:11], -1, v31
	s_and_b64 s[10:11], s[10:11], vcc
	s_and_b64 s[62:63], s[10:11], s[2:3]
	v_cmp_gt_i32_e64 s[10:11], s27, v31
	s_and_b64 s[10:11], s[10:11], s[62:63]
	s_and_b64 s[10:11], s[10:11], s[8:9]
	s_and_b64 s[10:11], s[10:11], s[4:5]
	v_mov_b32_e32 v32, 0
	s_and_saveexec_b64 s[62:63], s[10:11]
	s_cbranch_execz .LBB31_15
; %bb.17:                               ;   in Loop: Header=BB31_16 Depth=5
	v_add_u32_e32 v32, v31, v28
	v_ashrrev_i32_e32 v33, 31, v32
	v_lshlrev_b64 v[32:33], 1, v[32:33]
	v_add_co_u32_e64 v32, s[10:11], v25, v32
	v_addc_co_u32_e64 v33, s[10:11], v26, v33, s[10:11]
	global_load_ushort v32, v[32:33], off
	s_waitcnt vmcnt(0)
	v_lshlrev_b32_e32 v32, 16, v32
	s_branch .LBB31_15
.LBB31_18:                              ;   in Loop: Header=BB31_4 Depth=1
	v_mov_b32_e32 v21, 0
	s_branch .LBB31_3
.LBB31_19:
	s_endpgm
	.section	.rodata,"a",@progbits
	.p2align	6, 0x0
	.amdhsa_kernel _ZN2at6native12_GLOBAL__N_143conv_depthwise3d_cuda_backward_input_kernelIN3c108BFloat16EfLin1ELin1ELin1ELin1ELin1ELin1ELin1ELin1ELin1EEEvN5torch10headeronly6detail27GenericPackedTensorAccessorINS7_14TensorAccessorINS3_8ArrayRefIlEEKT_Lm4ENS6_16DefaultPtrTraitsEiEENS_6detail16IndexBoundsCheckILm5EiEESD_Lm5ESE_iEENS8_INS9_ISB_SC_Lm4ESE_iEESI_SC_Lm5ESE_iEESJ_iiiiiiiii
		.amdhsa_group_segment_fixed_size 0
		.amdhsa_private_segment_fixed_size 0
		.amdhsa_kernarg_size 440
		.amdhsa_user_sgpr_count 6
		.amdhsa_user_sgpr_private_segment_buffer 1
		.amdhsa_user_sgpr_dispatch_ptr 0
		.amdhsa_user_sgpr_queue_ptr 0
		.amdhsa_user_sgpr_kernarg_segment_ptr 1
		.amdhsa_user_sgpr_dispatch_id 0
		.amdhsa_user_sgpr_flat_scratch_init 0
		.amdhsa_user_sgpr_private_segment_size 0
		.amdhsa_uses_dynamic_stack 0
		.amdhsa_system_sgpr_private_segment_wavefront_offset 0
		.amdhsa_system_sgpr_workgroup_id_x 1
		.amdhsa_system_sgpr_workgroup_id_y 0
		.amdhsa_system_sgpr_workgroup_id_z 0
		.amdhsa_system_sgpr_workgroup_info 0
		.amdhsa_system_vgpr_workitem_id 0
		.amdhsa_next_free_vgpr 35
		.amdhsa_next_free_sgpr 82
		.amdhsa_reserve_vcc 1
		.amdhsa_reserve_flat_scratch 0
		.amdhsa_float_round_mode_32 0
		.amdhsa_float_round_mode_16_64 0
		.amdhsa_float_denorm_mode_32 3
		.amdhsa_float_denorm_mode_16_64 3
		.amdhsa_dx10_clamp 1
		.amdhsa_ieee_mode 1
		.amdhsa_fp16_overflow 0
		.amdhsa_exception_fp_ieee_invalid_op 0
		.amdhsa_exception_fp_denorm_src 0
		.amdhsa_exception_fp_ieee_div_zero 0
		.amdhsa_exception_fp_ieee_overflow 0
		.amdhsa_exception_fp_ieee_underflow 0
		.amdhsa_exception_fp_ieee_inexact 0
		.amdhsa_exception_int_div_zero 0
	.end_amdhsa_kernel
	.section	.text._ZN2at6native12_GLOBAL__N_143conv_depthwise3d_cuda_backward_input_kernelIN3c108BFloat16EfLin1ELin1ELin1ELin1ELin1ELin1ELin1ELin1ELin1EEEvN5torch10headeronly6detail27GenericPackedTensorAccessorINS7_14TensorAccessorINS3_8ArrayRefIlEEKT_Lm4ENS6_16DefaultPtrTraitsEiEENS_6detail16IndexBoundsCheckILm5EiEESD_Lm5ESE_iEENS8_INS9_ISB_SC_Lm4ESE_iEESI_SC_Lm5ESE_iEESJ_iiiiiiiii,"axG",@progbits,_ZN2at6native12_GLOBAL__N_143conv_depthwise3d_cuda_backward_input_kernelIN3c108BFloat16EfLin1ELin1ELin1ELin1ELin1ELin1ELin1ELin1ELin1EEEvN5torch10headeronly6detail27GenericPackedTensorAccessorINS7_14TensorAccessorINS3_8ArrayRefIlEEKT_Lm4ENS6_16DefaultPtrTraitsEiEENS_6detail16IndexBoundsCheckILm5EiEESD_Lm5ESE_iEENS8_INS9_ISB_SC_Lm4ESE_iEESI_SC_Lm5ESE_iEESJ_iiiiiiiii,comdat
.Lfunc_end31:
	.size	_ZN2at6native12_GLOBAL__N_143conv_depthwise3d_cuda_backward_input_kernelIN3c108BFloat16EfLin1ELin1ELin1ELin1ELin1ELin1ELin1ELin1ELin1EEEvN5torch10headeronly6detail27GenericPackedTensorAccessorINS7_14TensorAccessorINS3_8ArrayRefIlEEKT_Lm4ENS6_16DefaultPtrTraitsEiEENS_6detail16IndexBoundsCheckILm5EiEESD_Lm5ESE_iEENS8_INS9_ISB_SC_Lm4ESE_iEESI_SC_Lm5ESE_iEESJ_iiiiiiiii, .Lfunc_end31-_ZN2at6native12_GLOBAL__N_143conv_depthwise3d_cuda_backward_input_kernelIN3c108BFloat16EfLin1ELin1ELin1ELin1ELin1ELin1ELin1ELin1ELin1EEEvN5torch10headeronly6detail27GenericPackedTensorAccessorINS7_14TensorAccessorINS3_8ArrayRefIlEEKT_Lm4ENS6_16DefaultPtrTraitsEiEENS_6detail16IndexBoundsCheckILm5EiEESD_Lm5ESE_iEENS8_INS9_ISB_SC_Lm4ESE_iEESI_SC_Lm5ESE_iEESJ_iiiiiiiii
                                        ; -- End function
	.set _ZN2at6native12_GLOBAL__N_143conv_depthwise3d_cuda_backward_input_kernelIN3c108BFloat16EfLin1ELin1ELin1ELin1ELin1ELin1ELin1ELin1ELin1EEEvN5torch10headeronly6detail27GenericPackedTensorAccessorINS7_14TensorAccessorINS3_8ArrayRefIlEEKT_Lm4ENS6_16DefaultPtrTraitsEiEENS_6detail16IndexBoundsCheckILm5EiEESD_Lm5ESE_iEENS8_INS9_ISB_SC_Lm4ESE_iEESI_SC_Lm5ESE_iEESJ_iiiiiiiii.num_vgpr, 35
	.set _ZN2at6native12_GLOBAL__N_143conv_depthwise3d_cuda_backward_input_kernelIN3c108BFloat16EfLin1ELin1ELin1ELin1ELin1ELin1ELin1ELin1ELin1EEEvN5torch10headeronly6detail27GenericPackedTensorAccessorINS7_14TensorAccessorINS3_8ArrayRefIlEEKT_Lm4ENS6_16DefaultPtrTraitsEiEENS_6detail16IndexBoundsCheckILm5EiEESD_Lm5ESE_iEENS8_INS9_ISB_SC_Lm4ESE_iEESI_SC_Lm5ESE_iEESJ_iiiiiiiii.num_agpr, 0
	.set _ZN2at6native12_GLOBAL__N_143conv_depthwise3d_cuda_backward_input_kernelIN3c108BFloat16EfLin1ELin1ELin1ELin1ELin1ELin1ELin1ELin1ELin1EEEvN5torch10headeronly6detail27GenericPackedTensorAccessorINS7_14TensorAccessorINS3_8ArrayRefIlEEKT_Lm4ENS6_16DefaultPtrTraitsEiEENS_6detail16IndexBoundsCheckILm5EiEESD_Lm5ESE_iEENS8_INS9_ISB_SC_Lm4ESE_iEESI_SC_Lm5ESE_iEESJ_iiiiiiiii.numbered_sgpr, 82
	.set _ZN2at6native12_GLOBAL__N_143conv_depthwise3d_cuda_backward_input_kernelIN3c108BFloat16EfLin1ELin1ELin1ELin1ELin1ELin1ELin1ELin1ELin1EEEvN5torch10headeronly6detail27GenericPackedTensorAccessorINS7_14TensorAccessorINS3_8ArrayRefIlEEKT_Lm4ENS6_16DefaultPtrTraitsEiEENS_6detail16IndexBoundsCheckILm5EiEESD_Lm5ESE_iEENS8_INS9_ISB_SC_Lm4ESE_iEESI_SC_Lm5ESE_iEESJ_iiiiiiiii.num_named_barrier, 0
	.set _ZN2at6native12_GLOBAL__N_143conv_depthwise3d_cuda_backward_input_kernelIN3c108BFloat16EfLin1ELin1ELin1ELin1ELin1ELin1ELin1ELin1ELin1EEEvN5torch10headeronly6detail27GenericPackedTensorAccessorINS7_14TensorAccessorINS3_8ArrayRefIlEEKT_Lm4ENS6_16DefaultPtrTraitsEiEENS_6detail16IndexBoundsCheckILm5EiEESD_Lm5ESE_iEENS8_INS9_ISB_SC_Lm4ESE_iEESI_SC_Lm5ESE_iEESJ_iiiiiiiii.private_seg_size, 0
	.set _ZN2at6native12_GLOBAL__N_143conv_depthwise3d_cuda_backward_input_kernelIN3c108BFloat16EfLin1ELin1ELin1ELin1ELin1ELin1ELin1ELin1ELin1EEEvN5torch10headeronly6detail27GenericPackedTensorAccessorINS7_14TensorAccessorINS3_8ArrayRefIlEEKT_Lm4ENS6_16DefaultPtrTraitsEiEENS_6detail16IndexBoundsCheckILm5EiEESD_Lm5ESE_iEENS8_INS9_ISB_SC_Lm4ESE_iEESI_SC_Lm5ESE_iEESJ_iiiiiiiii.uses_vcc, 1
	.set _ZN2at6native12_GLOBAL__N_143conv_depthwise3d_cuda_backward_input_kernelIN3c108BFloat16EfLin1ELin1ELin1ELin1ELin1ELin1ELin1ELin1ELin1EEEvN5torch10headeronly6detail27GenericPackedTensorAccessorINS7_14TensorAccessorINS3_8ArrayRefIlEEKT_Lm4ENS6_16DefaultPtrTraitsEiEENS_6detail16IndexBoundsCheckILm5EiEESD_Lm5ESE_iEENS8_INS9_ISB_SC_Lm4ESE_iEESI_SC_Lm5ESE_iEESJ_iiiiiiiii.uses_flat_scratch, 0
	.set _ZN2at6native12_GLOBAL__N_143conv_depthwise3d_cuda_backward_input_kernelIN3c108BFloat16EfLin1ELin1ELin1ELin1ELin1ELin1ELin1ELin1ELin1EEEvN5torch10headeronly6detail27GenericPackedTensorAccessorINS7_14TensorAccessorINS3_8ArrayRefIlEEKT_Lm4ENS6_16DefaultPtrTraitsEiEENS_6detail16IndexBoundsCheckILm5EiEESD_Lm5ESE_iEENS8_INS9_ISB_SC_Lm4ESE_iEESI_SC_Lm5ESE_iEESJ_iiiiiiiii.has_dyn_sized_stack, 0
	.set _ZN2at6native12_GLOBAL__N_143conv_depthwise3d_cuda_backward_input_kernelIN3c108BFloat16EfLin1ELin1ELin1ELin1ELin1ELin1ELin1ELin1ELin1EEEvN5torch10headeronly6detail27GenericPackedTensorAccessorINS7_14TensorAccessorINS3_8ArrayRefIlEEKT_Lm4ENS6_16DefaultPtrTraitsEiEENS_6detail16IndexBoundsCheckILm5EiEESD_Lm5ESE_iEENS8_INS9_ISB_SC_Lm4ESE_iEESI_SC_Lm5ESE_iEESJ_iiiiiiiii.has_recursion, 0
	.set _ZN2at6native12_GLOBAL__N_143conv_depthwise3d_cuda_backward_input_kernelIN3c108BFloat16EfLin1ELin1ELin1ELin1ELin1ELin1ELin1ELin1ELin1EEEvN5torch10headeronly6detail27GenericPackedTensorAccessorINS7_14TensorAccessorINS3_8ArrayRefIlEEKT_Lm4ENS6_16DefaultPtrTraitsEiEENS_6detail16IndexBoundsCheckILm5EiEESD_Lm5ESE_iEENS8_INS9_ISB_SC_Lm4ESE_iEESI_SC_Lm5ESE_iEESJ_iiiiiiiii.has_indirect_call, 0
	.section	.AMDGPU.csdata,"",@progbits
; Kernel info:
; codeLenInByte = 2048
; TotalNumSgprs: 86
; NumVgprs: 35
; ScratchSize: 0
; MemoryBound: 0
; FloatMode: 240
; IeeeMode: 1
; LDSByteSize: 0 bytes/workgroup (compile time only)
; SGPRBlocks: 10
; VGPRBlocks: 8
; NumSGPRsForWavesPerEU: 86
; NumVGPRsForWavesPerEU: 35
; Occupancy: 7
; WaveLimiterHint : 0
; COMPUTE_PGM_RSRC2:SCRATCH_EN: 0
; COMPUTE_PGM_RSRC2:USER_SGPR: 6
; COMPUTE_PGM_RSRC2:TRAP_HANDLER: 0
; COMPUTE_PGM_RSRC2:TGID_X_EN: 1
; COMPUTE_PGM_RSRC2:TGID_Y_EN: 0
; COMPUTE_PGM_RSRC2:TGID_Z_EN: 0
; COMPUTE_PGM_RSRC2:TIDIG_COMP_CNT: 0
	.section	.text._ZN2at6native12_GLOBAL__N_144conv_depthwise3d_cuda_backward_weight_kernelIddLi1ELi1EEEvN5torch10headeronly6detail27GenericPackedTensorAccessorINS5_14TensorAccessorIN3c108ArrayRefIlEEKT_Lm4ENS4_16DefaultPtrTraitsEiEENS_6detail16IndexBoundsCheckILm5EiEESC_Lm5ESD_iEESI_NS6_INS7_ISA_SB_Lm4ESD_iEESH_SB_Lm5ESD_iEEiiiiiiiii,"axG",@progbits,_ZN2at6native12_GLOBAL__N_144conv_depthwise3d_cuda_backward_weight_kernelIddLi1ELi1EEEvN5torch10headeronly6detail27GenericPackedTensorAccessorINS5_14TensorAccessorIN3c108ArrayRefIlEEKT_Lm4ENS4_16DefaultPtrTraitsEiEENS_6detail16IndexBoundsCheckILm5EiEESC_Lm5ESD_iEESI_NS6_INS7_ISA_SB_Lm4ESD_iEESH_SB_Lm5ESD_iEEiiiiiiiii,comdat
	.globl	_ZN2at6native12_GLOBAL__N_144conv_depthwise3d_cuda_backward_weight_kernelIddLi1ELi1EEEvN5torch10headeronly6detail27GenericPackedTensorAccessorINS5_14TensorAccessorIN3c108ArrayRefIlEEKT_Lm4ENS4_16DefaultPtrTraitsEiEENS_6detail16IndexBoundsCheckILm5EiEESC_Lm5ESD_iEESI_NS6_INS7_ISA_SB_Lm4ESD_iEESH_SB_Lm5ESD_iEEiiiiiiiii ; -- Begin function _ZN2at6native12_GLOBAL__N_144conv_depthwise3d_cuda_backward_weight_kernelIddLi1ELi1EEEvN5torch10headeronly6detail27GenericPackedTensorAccessorINS5_14TensorAccessorIN3c108ArrayRefIlEEKT_Lm4ENS4_16DefaultPtrTraitsEiEENS_6detail16IndexBoundsCheckILm5EiEESC_Lm5ESD_iEESI_NS6_INS7_ISA_SB_Lm4ESD_iEESH_SB_Lm5ESD_iEEiiiiiiiii
	.p2align	8
	.type	_ZN2at6native12_GLOBAL__N_144conv_depthwise3d_cuda_backward_weight_kernelIddLi1ELi1EEEvN5torch10headeronly6detail27GenericPackedTensorAccessorINS5_14TensorAccessorIN3c108ArrayRefIlEEKT_Lm4ENS4_16DefaultPtrTraitsEiEENS_6detail16IndexBoundsCheckILm5EiEESC_Lm5ESD_iEESI_NS6_INS7_ISA_SB_Lm4ESD_iEESH_SB_Lm5ESD_iEEiiiiiiiii,@function
_ZN2at6native12_GLOBAL__N_144conv_depthwise3d_cuda_backward_weight_kernelIddLi1ELi1EEEvN5torch10headeronly6detail27GenericPackedTensorAccessorINS5_14TensorAccessorIN3c108ArrayRefIlEEKT_Lm4ENS4_16DefaultPtrTraitsEiEENS_6detail16IndexBoundsCheckILm5EiEESC_Lm5ESD_iEESI_NS6_INS7_ISA_SB_Lm4ESD_iEESH_SB_Lm5ESD_iEEiiiiiiiii: ; @_ZN2at6native12_GLOBAL__N_144conv_depthwise3d_cuda_backward_weight_kernelIddLi1ELi1EEEvN5torch10headeronly6detail27GenericPackedTensorAccessorINS5_14TensorAccessorIN3c108ArrayRefIlEEKT_Lm4ENS4_16DefaultPtrTraitsEiEENS_6detail16IndexBoundsCheckILm5EiEESC_Lm5ESD_iEESI_NS6_INS7_ISA_SB_Lm4ESD_iEESH_SB_Lm5ESD_iEEiiiiiiiii
; %bb.0:
	s_load_dwordx4 s[8:11], s[4:5], 0x70
	s_add_u32 s0, s4, 0x60
	s_addc_u32 s1, s5, 0
	s_load_dwordx4 s[16:19], s[4:5], 0x3c
	s_load_dwordx4 s[20:23], s[4:5], 0xc
	s_waitcnt lgkmcnt(0)
	v_cvt_f32_u32_e32 v1, s10
	v_cvt_f32_u32_e32 v2, s9
	s_sub_i32 s2, 0, s10
	v_rcp_iflag_f32_e32 v1, v1
	v_rcp_iflag_f32_e32 v2, v2
	v_mul_f32_e32 v1, 0x4f7ffffe, v1
	v_cvt_u32_f32_e32 v1, v1
	v_mul_f32_e32 v2, 0x4f7ffffe, v2
	v_cvt_u32_f32_e32 v2, v2
	v_readfirstlane_b32 s3, v1
	s_mul_i32 s2, s2, s3
	s_mul_hi_u32 s2, s3, s2
	s_add_i32 s3, s3, s2
	s_mul_hi_u32 s2, s6, s3
	s_mul_i32 s3, s2, s10
	s_sub_i32 s3, s6, s3
	s_add_i32 s12, s2, 1
	s_sub_i32 s13, s3, s10
	s_cmp_ge_u32 s3, s10
	s_cselect_b32 s2, s12, s2
	s_cselect_b32 s3, s13, s3
	s_add_i32 s12, s2, 1
	s_cmp_ge_u32 s3, s10
	v_cvt_f32_u32_e32 v1, s8
	v_readfirstlane_b32 s7, v2
	s_cselect_b32 s2, s12, s2
	s_sub_i32 s3, 0, s9
	s_mul_i32 s3, s3, s7
	s_mul_hi_u32 s3, s7, s3
	s_add_i32 s7, s7, s3
	v_rcp_iflag_f32_e32 v1, v1
	s_mul_hi_u32 s3, s2, s7
	s_mul_i32 s7, s3, s9
	s_sub_i32 s7, s2, s7
	s_add_i32 s12, s3, 1
	s_sub_i32 s13, s7, s9
	v_mul_f32_e32 v1, 0x4f7ffffe, v1
	s_cmp_ge_u32 s7, s9
	v_cvt_u32_f32_e32 v1, v1
	s_cselect_b32 s3, s12, s3
	s_cselect_b32 s7, s13, s7
	s_add_i32 s12, s3, 1
	s_cmp_ge_u32 s7, s9
	s_cselect_b32 s3, s12, s3
	s_sub_i32 s7, 0, s8
	v_readfirstlane_b32 s12, v1
	s_mul_i32 s7, s7, s12
	s_mul_hi_u32 s7, s12, s7
	s_add_i32 s12, s12, s7
	s_mul_hi_u32 s7, s3, s12
	s_mul_i32 s12, s7, s8
	s_sub_i32 s12, s3, s12
	s_add_i32 s13, s7, 1
	s_sub_i32 s14, s12, s8
	s_cmp_ge_u32 s12, s8
	s_cselect_b32 s7, s13, s7
	s_cselect_b32 s12, s14, s12
	s_add_i32 s13, s7, 1
	s_cmp_ge_u32 s12, s8
	s_cselect_b32 s33, s13, s7
	s_abs_i32 s7, s16
	v_cvt_f32_u32_e32 v1, s7
	s_sub_i32 s14, 0, s7
	s_abs_i32 s13, s20
	s_xor_b32 s12, s20, s16
	v_rcp_iflag_f32_e32 v1, v1
	s_ashr_i32 s12, s12, 31
	v_mul_f32_e32 v1, 0x4f7ffffe, v1
	v_cvt_u32_f32_e32 v1, v1
	v_readfirstlane_b32 s15, v1
	s_mul_i32 s14, s14, s15
	s_mul_hi_u32 s14, s15, s14
	s_add_i32 s15, s15, s14
	s_mul_hi_u32 s14, s13, s15
	s_mul_i32 s15, s14, s7
	s_sub_i32 s13, s13, s15
	s_add_i32 s15, s14, 1
	s_sub_i32 s16, s13, s7
	s_cmp_ge_u32 s13, s7
	s_cselect_b32 s14, s15, s14
	s_cselect_b32 s13, s16, s13
	s_add_i32 s15, s14, 1
	s_cmp_ge_u32 s13, s7
	s_cselect_b32 s7, s15, s14
	s_xor_b32 s7, s7, s12
	s_sub_i32 s25, s7, s12
	s_abs_i32 s24, s25
	v_cvt_f32_u32_e32 v1, s24
	s_load_dword s7, s[4:5], 0x68
	v_rcp_iflag_f32_e32 v1, v1
	s_waitcnt lgkmcnt(0)
	s_cmp_ge_i32 s33, s7
	v_mul_f32_e32 v1, 0x4f7ffffe, v1
	v_cvt_u32_f32_e32 v1, v1
	v_readfirstlane_b32 s26, v1
	s_cbranch_scc1 .LBB32_28
; %bb.1:
	s_load_dwordx2 s[34:35], s[0:1], 0x0
	s_load_dwordx4 s[12:15], s[0:1], 0x24
	s_mul_i32 s0, s2, s10
	s_sub_i32 s10, s6, s0
	s_mul_i32 s0, s3, s9
	s_sub_i32 s16, s2, s0
	s_load_dword s0, s[4:5], 0xc4
	s_load_dword s45, s[4:5], 0x38
	s_mul_i32 s1, s33, s8
	v_lshrrev_b32_e32 v10, 6, v0
	v_mov_b32_e32 v1, 0
	s_sub_i32 s20, s3, s1
	s_waitcnt lgkmcnt(0)
	s_mul_i32 s45, s45, s21
	s_and_b32 s44, s0, 0xffff
	v_mov_b32_e32 v2, 0
	v_cmp_gt_i32_e32 vcc, s45, v10
	s_and_saveexec_b64 s[6:7], vcc
	s_cbranch_execz .LBB32_23
; %bb.2:
	s_sub_i32 s3, 0, s24
	s_mul_i32 s3, s3, s26
	s_mul_hi_u32 s3, s26, s3
	s_abs_i32 s2, s33
	s_add_i32 s26, s26, s3
	s_ashr_i32 s0, s33, 31
	s_ashr_i32 s1, s25, 31
	s_mul_hi_u32 s3, s2, s26
	s_xor_b32 s28, s0, s1
	s_mul_i32 s0, s3, s24
	s_sub_i32 s0, s2, s0
	s_lshr_b32 s46, s44, 6
	s_add_i32 s1, s3, 1
	s_sub_i32 s2, s0, s24
	s_cmp_ge_u32 s0, s24
	s_cselect_b32 s1, s1, s3
	s_cselect_b32 s0, s2, s0
	s_add_i32 s2, s1, 1
	s_cmp_ge_u32 s0, s24
	s_cselect_b32 s29, s2, s1
	s_abs_i32 s42, s21
	v_cvt_f32_u32_e32 v1, s42
	s_sub_i32 s0, 0, s42
	s_ashr_i32 s43, s21, 31
	v_and_b32_e32 v4, 63, v0
	v_rcp_iflag_f32_e32 v1, v1
	v_mov_b32_e32 v13, 0
	v_lshlrev_b32_e32 v16, 3, v4
	v_mul_f32_e32 v1, 0x4f7ffffe, v1
	v_cvt_u32_f32_e32 v1, v1
	v_mul_lo_u32 v2, s0, v1
	s_load_dwordx4 s[0:3], s[4:5], 0x9c
	s_load_dwordx2 s[8:9], s[4:5], 0xac
	s_load_dwordx2 s[36:37], s[4:5], 0x0
	s_load_dwordx4 s[24:27], s[4:5], 0x1c
	v_mul_hi_u32 v2, v1, v2
	s_waitcnt lgkmcnt(0)
	s_mul_i32 s3, s20, s3
	s_sub_i32 s27, s3, s0
	s_xor_b32 s0, s29, s28
	s_sub_i32 s0, s0, s28
	s_load_dwordx2 s[40:41], s[4:5], 0x30
	s_load_dwordx4 s[28:31], s[4:5], 0x4c
	s_mul_i32 s38, s25, s33
	s_ashr_i32 s39, s38, 31
	s_lshl_b64 s[4:5], s[38:39], 3
	s_add_u32 s25, s36, s4
	s_waitcnt lgkmcnt(0)
	s_mul_i32 s4, s29, s0
	s_addc_u32 s31, s37, s5
	s_ashr_i32 s5, s4, 31
	s_lshl_b64 s[4:5], s[4:5], 3
	s_add_u32 s29, s40, s4
	s_addc_u32 s47, s41, s5
	s_abs_i32 s0, s23
	v_cvt_f32_u32_e32 v3, s0
	v_add_u32_e32 v1, v1, v2
	v_mul_hi_u32 v1, v10, v1
	s_sub_i32 s3, 0, s0
	v_rcp_iflag_f32_e32 v3, v3
	v_mul_lo_u32 v2, v1, s42
	v_add_u32_e32 v5, 1, v1
	v_mul_f32_e32 v3, 0x4f7ffffe, v3
	v_cvt_u32_f32_e32 v3, v3
	v_sub_u32_e32 v2, v10, v2
	v_cmp_le_u32_e32 vcc, s42, v2
	v_cndmask_b32_e32 v1, v1, v5, vcc
	v_subrev_u32_e32 v5, s42, v2
	v_cndmask_b32_e32 v2, v2, v5, vcc
	v_mul_lo_u32 v5, s3, v3
	v_cmp_le_u32_e32 vcc, s42, v2
	v_add_u32_e32 v6, 1, v1
	v_cndmask_b32_e32 v1, v1, v6, vcc
	v_mul_hi_u32 v2, v3, v5
	v_xor_b32_e32 v1, s43, v1
	v_subrev_u32_e32 v11, s43, v1
	v_mul_lo_u32 v1, v11, s21
	v_add_u32_e32 v2, v3, v2
	v_mul_hi_u32 v2, v4, v2
	s_mul_i32 s3, s10, s9
	v_sub_u32_e32 v12, v10, v1
	s_sub_i32 s48, s3, s2
	v_mul_lo_u32 v1, v2, s0
	v_add_u32_e32 v3, 1, v2
	s_ashr_i32 s2, s23, 31
	v_sub_u32_e32 v1, v4, v1
	v_cmp_le_u32_e32 vcc, s0, v1
	v_cndmask_b32_e32 v2, v2, v3, vcc
	v_subrev_u32_e32 v3, s0, v1
	v_cndmask_b32_e32 v1, v1, v3, vcc
	v_add_u32_e32 v3, 1, v2
	v_cmp_le_u32_e32 vcc, s0, v1
	v_cndmask_b32_e32 v1, v2, v3, vcc
	v_xor_b32_e32 v1, s2, v1
	v_subrev_u32_e32 v14, s2, v1
	v_mul_lo_u32 v1, v14, s23
	s_mul_i32 s0, s16, s8
	s_sub_i32 s49, s0, s1
	v_cmp_gt_i32_e64 s[0:1], s22, v14
	v_sub_u32_e32 v15, v4, v1
	v_mov_b32_e32 v1, 0
	v_mov_b32_e32 v2, 0
	s_mov_b64 s[8:9], 0
	s_branch .LBB32_6
.LBB32_3:                               ;   in Loop: Header=BB32_6 Depth=1
	s_or_b64 exec, exec, s[40:41]
.LBB32_4:                               ;   in Loop: Header=BB32_6 Depth=1
	s_or_b64 exec, exec, s[38:39]
.LBB32_5:                               ;   in Loop: Header=BB32_6 Depth=1
	s_or_b64 exec, exec, s[36:37]
	v_add_u32_e32 v10, s46, v10
	v_cmp_le_i32_e32 vcc, s45, v10
	s_or_b64 s[8:9], vcc, s[8:9]
	v_add_u32_e32 v12, s46, v12
	s_andn2_b64 exec, exec, s[8:9]
	s_cbranch_execz .LBB32_22
.LBB32_6:                               ; =>This Loop Header: Depth=1
                                        ;     Child Loop BB32_8 Depth 2
                                        ;     Child Loop BB32_14 Depth 2
                                        ;       Child Loop BB32_20 Depth 3
	v_cmp_le_i32_e32 vcc, s21, v12
	s_and_saveexec_b64 s[2:3], vcc
	s_cbranch_execz .LBB32_10
; %bb.7:                                ;   in Loop: Header=BB32_6 Depth=1
	s_mov_b64 s[4:5], 0
.LBB32_8:                               ;   Parent Loop BB32_6 Depth=1
                                        ; =>  This Inner Loop Header: Depth=2
	v_subrev_u32_e32 v12, s21, v12
	v_cmp_gt_i32_e32 vcc, s21, v12
	s_or_b64 s[4:5], vcc, s[4:5]
	v_add_u32_e32 v11, 1, v11
	s_andn2_b64 exec, exec, s[4:5]
	s_cbranch_execnz .LBB32_8
; %bb.9:                                ;   in Loop: Header=BB32_6 Depth=1
	s_or_b64 exec, exec, s[4:5]
.LBB32_10:                              ;   in Loop: Header=BB32_6 Depth=1
	s_or_b64 exec, exec, s[2:3]
	v_mul_lo_u32 v3, v12, s15
	v_add_u32_e32 v3, s27, v3
	v_cmp_lt_i32_e32 vcc, -1, v3
	v_cmp_gt_i32_e64 s[2:3], s17, v3
	s_and_b64 s[2:3], vcc, s[2:3]
	s_and_saveexec_b64 s[36:37], s[2:3]
	s_cbranch_execz .LBB32_5
; %bb.11:                               ;   in Loop: Header=BB32_6 Depth=1
	s_and_saveexec_b64 s[38:39], s[0:1]
	s_cbranch_execz .LBB32_4
; %bb.12:                               ;   in Loop: Header=BB32_6 Depth=1
	v_mul_lo_u32 v4, s28, v11
	v_mul_lo_u32 v3, s30, v3
	v_mov_b32_e32 v6, s47
	s_mov_b64 s[40:41], 0
	v_ashrrev_i32_e32 v5, 31, v4
	v_lshlrev_b64 v[4:5], 3, v[4:5]
	v_mov_b32_e32 v19, v15
	v_add_co_u32_e32 v7, vcc, s29, v4
	v_addc_co_u32_e32 v6, vcc, v6, v5, vcc
	v_ashrrev_i32_e32 v4, 31, v3
	v_mul_lo_u32 v5, s24, v11
	v_lshlrev_b64 v[3:4], 3, v[3:4]
	v_mov_b32_e32 v20, v14
	v_add_co_u32_e32 v17, vcc, v7, v3
	v_addc_co_u32_e32 v18, vcc, v6, v4, vcc
	v_ashrrev_i32_e32 v6, 31, v5
	v_lshlrev_b64 v[3:4], 3, v[5:6]
	v_mul_lo_u32 v5, s26, v12
	v_mov_b32_e32 v6, s31
	v_add_co_u32_e32 v7, vcc, s25, v3
	v_addc_co_u32_e32 v8, vcc, v6, v4, vcc
	v_ashrrev_i32_e32 v6, 31, v5
	v_lshlrev_b64 v[3:4], 3, v[5:6]
	v_add_co_u32_e32 v3, vcc, v7, v3
	v_addc_co_u32_e32 v4, vcc, v8, v4, vcc
	v_add_co_u32_e32 v3, vcc, v3, v16
	v_addc_co_u32_e32 v4, vcc, 0, v4, vcc
	s_branch .LBB32_14
.LBB32_13:                              ;   in Loop: Header=BB32_14 Depth=2
	s_or_b64 exec, exec, s[2:3]
	s_waitcnt vmcnt(0)
	v_fma_f64 v[1:2], v[5:6], v[7:8], v[1:2]
	v_add_co_u32_e32 v3, vcc, 0x200, v3
	v_cmp_le_i32_e64 s[2:3], s22, v20
	s_or_b64 s[40:41], s[2:3], s[40:41]
	v_addc_co_u32_e32 v4, vcc, 0, v4, vcc
	s_andn2_b64 exec, exec, s[40:41]
	s_cbranch_execz .LBB32_3
.LBB32_14:                              ;   Parent Loop BB32_6 Depth=1
                                        ; =>  This Loop Header: Depth=2
                                        ;       Child Loop BB32_20 Depth 3
	global_load_dwordx2 v[5:6], v[3:4], off
	v_add_u32_e32 v9, s48, v19
	v_mov_b32_e32 v7, 0
	v_mov_b32_e32 v8, 0
	v_cmp_lt_i32_e32 vcc, -1, v9
	s_and_saveexec_b64 s[42:43], vcc
	s_cbranch_execz .LBB32_18
; %bb.15:                               ;   in Loop: Header=BB32_14 Depth=2
	v_add_u32_e32 v21, s49, v20
	v_cmp_gt_i32_e32 vcc, s19, v9
	v_cmp_gt_i32_e64 s[4:5], s18, v21
	v_cmp_lt_i32_e64 s[2:3], -1, v21
	s_and_b64 s[4:5], vcc, s[4:5]
	v_mov_b32_e32 v7, 0
	v_mov_b32_e32 v8, 0
	s_and_b64 s[4:5], s[4:5], s[2:3]
	s_and_saveexec_b64 s[2:3], s[4:5]
	s_cbranch_execz .LBB32_17
; %bb.16:                               ;   in Loop: Header=BB32_14 Depth=2
	v_mad_u64_u32 v[7:8], s[4:5], v21, s19, v[9:10]
	v_mov_b32_e32 v8, v13
	v_lshlrev_b64 v[7:8], 3, v[7:8]
	v_add_co_u32_e32 v7, vcc, v17, v7
	v_addc_co_u32_e32 v8, vcc, v18, v8, vcc
	global_load_dwordx2 v[7:8], v[7:8], off
.LBB32_17:                              ;   in Loop: Header=BB32_14 Depth=2
	s_or_b64 exec, exec, s[2:3]
.LBB32_18:                              ;   in Loop: Header=BB32_14 Depth=2
	s_or_b64 exec, exec, s[42:43]
	v_add_u32_e32 v19, 64, v19
	v_cmp_le_i32_e32 vcc, s23, v19
	s_and_saveexec_b64 s[2:3], vcc
	s_cbranch_execz .LBB32_13
; %bb.19:                               ;   in Loop: Header=BB32_14 Depth=2
	s_mov_b64 s[4:5], 0
.LBB32_20:                              ;   Parent Loop BB32_6 Depth=1
                                        ;     Parent Loop BB32_14 Depth=2
                                        ; =>    This Inner Loop Header: Depth=3
	v_subrev_u32_e32 v19, s23, v19
	v_cmp_gt_i32_e32 vcc, s23, v19
	s_or_b64 s[4:5], vcc, s[4:5]
	v_add_u32_e32 v20, 1, v20
	s_andn2_b64 exec, exec, s[4:5]
	s_cbranch_execnz .LBB32_20
; %bb.21:                               ;   in Loop: Header=BB32_14 Depth=2
	s_or_b64 exec, exec, s[4:5]
	s_branch .LBB32_13
.LBB32_22:
	s_or_b64 exec, exec, s[8:9]
.LBB32_23:
	s_or_b64 exec, exec, s[6:7]
	s_bcnt1_i32_b32 s0, s44
	v_lshl_add_u32 v3, v0, 3, 0
	s_cmp_lg_u32 s0, 1
	s_mov_b64 s[0:1], -1
	ds_write_b64 v3, v[1:2]
	s_waitcnt lgkmcnt(0)
	s_barrier
	s_cbranch_scc1 .LBB32_32
; %bb.24:
	s_andn2_b64 vcc, exec, s[0:1]
	s_cbranch_vccnz .LBB32_28
.LBB32_25:
	s_cmp_lt_u32 s44, 2
	s_cbranch_scc0 .LBB32_30
.LBB32_26:
	v_cmp_eq_u32_e32 vcc, 0, v0
	s_and_saveexec_b64 s[0:1], vcc
	s_cbranch_execz .LBB32_28
; %bb.27:
	s_mul_i32 s0, s11, s33
	s_ashr_i32 s1, s0, 31
	s_lshl_b64 s[0:1], s[0:1], 3
	s_add_u32 s2, s34, s0
	s_mul_i32 s0, s12, s20
	s_addc_u32 s3, s35, s1
	s_ashr_i32 s1, s0, 31
	s_lshl_b64 s[0:1], s[0:1], 3
	s_add_u32 s2, s2, s0
	s_mul_i32 s0, s13, s16
	s_addc_u32 s3, s3, s1
	s_ashr_i32 s1, s0, 31
	s_lshl_b64 s[0:1], s[0:1], 3
	v_mov_b32_e32 v2, 0
	s_add_u32 s2, s2, s0
	s_mul_i32 s0, s14, s10
	ds_read_b64 v[0:1], v2
	s_addc_u32 s3, s3, s1
	s_ashr_i32 s1, s0, 31
	s_lshl_b64 s[0:1], s[0:1], 3
	s_add_u32 s0, s2, s0
	s_addc_u32 s1, s3, s1
	s_waitcnt lgkmcnt(0)
	global_store_dwordx2 v2, v[0:1], s[0:1]
.LBB32_28:
	s_endpgm
.LBB32_29:                              ;   in Loop: Header=BB32_30 Depth=1
	s_or_b64 exec, exec, s[0:1]
	s_cmp_lt_u32 s44, 4
	s_mov_b32 s44, s2
	s_waitcnt lgkmcnt(0)
	s_barrier
	s_cbranch_scc1 .LBB32_26
.LBB32_30:                              ; =>This Inner Loop Header: Depth=1
	s_lshr_b32 s2, s44, 1
	v_cmp_gt_u32_e32 vcc, s2, v0
	s_and_saveexec_b64 s[0:1], vcc
	s_cbranch_execz .LBB32_29
; %bb.31:                               ;   in Loop: Header=BB32_30 Depth=1
	v_lshl_add_u32 v1, s2, 3, v3
	ds_read_b64 v[1:2], v1
	ds_read_b64 v[4:5], v3
	s_waitcnt lgkmcnt(0)
	v_add_f64 v[1:2], v[1:2], v[4:5]
	ds_write_b64 v3, v[1:2]
	s_branch .LBB32_29
.LBB32_32:
	s_trap 2
	; divergent unreachable
	s_cbranch_execz .LBB32_25
	s_branch .LBB32_28
	.section	.rodata,"a",@progbits
	.p2align	6, 0x0
	.amdhsa_kernel _ZN2at6native12_GLOBAL__N_144conv_depthwise3d_cuda_backward_weight_kernelIddLi1ELi1EEEvN5torch10headeronly6detail27GenericPackedTensorAccessorINS5_14TensorAccessorIN3c108ArrayRefIlEEKT_Lm4ENS4_16DefaultPtrTraitsEiEENS_6detail16IndexBoundsCheckILm5EiEESC_Lm5ESD_iEESI_NS6_INS7_ISA_SB_Lm4ESD_iEESH_SB_Lm5ESD_iEEiiiiiiiii
		.amdhsa_group_segment_fixed_size 0
		.amdhsa_private_segment_fixed_size 0
		.amdhsa_kernarg_size 440
		.amdhsa_user_sgpr_count 6
		.amdhsa_user_sgpr_private_segment_buffer 1
		.amdhsa_user_sgpr_dispatch_ptr 0
		.amdhsa_user_sgpr_queue_ptr 0
		.amdhsa_user_sgpr_kernarg_segment_ptr 1
		.amdhsa_user_sgpr_dispatch_id 0
		.amdhsa_user_sgpr_flat_scratch_init 0
		.amdhsa_user_sgpr_private_segment_size 0
		.amdhsa_uses_dynamic_stack 0
		.amdhsa_system_sgpr_private_segment_wavefront_offset 0
		.amdhsa_system_sgpr_workgroup_id_x 1
		.amdhsa_system_sgpr_workgroup_id_y 0
		.amdhsa_system_sgpr_workgroup_id_z 0
		.amdhsa_system_sgpr_workgroup_info 0
		.amdhsa_system_vgpr_workitem_id 0
		.amdhsa_next_free_vgpr 22
		.amdhsa_next_free_sgpr 50
		.amdhsa_reserve_vcc 1
		.amdhsa_reserve_flat_scratch 0
		.amdhsa_float_round_mode_32 0
		.amdhsa_float_round_mode_16_64 0
		.amdhsa_float_denorm_mode_32 3
		.amdhsa_float_denorm_mode_16_64 3
		.amdhsa_dx10_clamp 1
		.amdhsa_ieee_mode 1
		.amdhsa_fp16_overflow 0
		.amdhsa_exception_fp_ieee_invalid_op 0
		.amdhsa_exception_fp_denorm_src 0
		.amdhsa_exception_fp_ieee_div_zero 0
		.amdhsa_exception_fp_ieee_overflow 0
		.amdhsa_exception_fp_ieee_underflow 0
		.amdhsa_exception_fp_ieee_inexact 0
		.amdhsa_exception_int_div_zero 0
	.end_amdhsa_kernel
	.section	.text._ZN2at6native12_GLOBAL__N_144conv_depthwise3d_cuda_backward_weight_kernelIddLi1ELi1EEEvN5torch10headeronly6detail27GenericPackedTensorAccessorINS5_14TensorAccessorIN3c108ArrayRefIlEEKT_Lm4ENS4_16DefaultPtrTraitsEiEENS_6detail16IndexBoundsCheckILm5EiEESC_Lm5ESD_iEESI_NS6_INS7_ISA_SB_Lm4ESD_iEESH_SB_Lm5ESD_iEEiiiiiiiii,"axG",@progbits,_ZN2at6native12_GLOBAL__N_144conv_depthwise3d_cuda_backward_weight_kernelIddLi1ELi1EEEvN5torch10headeronly6detail27GenericPackedTensorAccessorINS5_14TensorAccessorIN3c108ArrayRefIlEEKT_Lm4ENS4_16DefaultPtrTraitsEiEENS_6detail16IndexBoundsCheckILm5EiEESC_Lm5ESD_iEESI_NS6_INS7_ISA_SB_Lm4ESD_iEESH_SB_Lm5ESD_iEEiiiiiiiii,comdat
.Lfunc_end32:
	.size	_ZN2at6native12_GLOBAL__N_144conv_depthwise3d_cuda_backward_weight_kernelIddLi1ELi1EEEvN5torch10headeronly6detail27GenericPackedTensorAccessorINS5_14TensorAccessorIN3c108ArrayRefIlEEKT_Lm4ENS4_16DefaultPtrTraitsEiEENS_6detail16IndexBoundsCheckILm5EiEESC_Lm5ESD_iEESI_NS6_INS7_ISA_SB_Lm4ESD_iEESH_SB_Lm5ESD_iEEiiiiiiiii, .Lfunc_end32-_ZN2at6native12_GLOBAL__N_144conv_depthwise3d_cuda_backward_weight_kernelIddLi1ELi1EEEvN5torch10headeronly6detail27GenericPackedTensorAccessorINS5_14TensorAccessorIN3c108ArrayRefIlEEKT_Lm4ENS4_16DefaultPtrTraitsEiEENS_6detail16IndexBoundsCheckILm5EiEESC_Lm5ESD_iEESI_NS6_INS7_ISA_SB_Lm4ESD_iEESH_SB_Lm5ESD_iEEiiiiiiiii
                                        ; -- End function
	.set _ZN2at6native12_GLOBAL__N_144conv_depthwise3d_cuda_backward_weight_kernelIddLi1ELi1EEEvN5torch10headeronly6detail27GenericPackedTensorAccessorINS5_14TensorAccessorIN3c108ArrayRefIlEEKT_Lm4ENS4_16DefaultPtrTraitsEiEENS_6detail16IndexBoundsCheckILm5EiEESC_Lm5ESD_iEESI_NS6_INS7_ISA_SB_Lm4ESD_iEESH_SB_Lm5ESD_iEEiiiiiiiii.num_vgpr, 22
	.set _ZN2at6native12_GLOBAL__N_144conv_depthwise3d_cuda_backward_weight_kernelIddLi1ELi1EEEvN5torch10headeronly6detail27GenericPackedTensorAccessorINS5_14TensorAccessorIN3c108ArrayRefIlEEKT_Lm4ENS4_16DefaultPtrTraitsEiEENS_6detail16IndexBoundsCheckILm5EiEESC_Lm5ESD_iEESI_NS6_INS7_ISA_SB_Lm4ESD_iEESH_SB_Lm5ESD_iEEiiiiiiiii.num_agpr, 0
	.set _ZN2at6native12_GLOBAL__N_144conv_depthwise3d_cuda_backward_weight_kernelIddLi1ELi1EEEvN5torch10headeronly6detail27GenericPackedTensorAccessorINS5_14TensorAccessorIN3c108ArrayRefIlEEKT_Lm4ENS4_16DefaultPtrTraitsEiEENS_6detail16IndexBoundsCheckILm5EiEESC_Lm5ESD_iEESI_NS6_INS7_ISA_SB_Lm4ESD_iEESH_SB_Lm5ESD_iEEiiiiiiiii.numbered_sgpr, 50
	.set _ZN2at6native12_GLOBAL__N_144conv_depthwise3d_cuda_backward_weight_kernelIddLi1ELi1EEEvN5torch10headeronly6detail27GenericPackedTensorAccessorINS5_14TensorAccessorIN3c108ArrayRefIlEEKT_Lm4ENS4_16DefaultPtrTraitsEiEENS_6detail16IndexBoundsCheckILm5EiEESC_Lm5ESD_iEESI_NS6_INS7_ISA_SB_Lm4ESD_iEESH_SB_Lm5ESD_iEEiiiiiiiii.num_named_barrier, 0
	.set _ZN2at6native12_GLOBAL__N_144conv_depthwise3d_cuda_backward_weight_kernelIddLi1ELi1EEEvN5torch10headeronly6detail27GenericPackedTensorAccessorINS5_14TensorAccessorIN3c108ArrayRefIlEEKT_Lm4ENS4_16DefaultPtrTraitsEiEENS_6detail16IndexBoundsCheckILm5EiEESC_Lm5ESD_iEESI_NS6_INS7_ISA_SB_Lm4ESD_iEESH_SB_Lm5ESD_iEEiiiiiiiii.private_seg_size, 0
	.set _ZN2at6native12_GLOBAL__N_144conv_depthwise3d_cuda_backward_weight_kernelIddLi1ELi1EEEvN5torch10headeronly6detail27GenericPackedTensorAccessorINS5_14TensorAccessorIN3c108ArrayRefIlEEKT_Lm4ENS4_16DefaultPtrTraitsEiEENS_6detail16IndexBoundsCheckILm5EiEESC_Lm5ESD_iEESI_NS6_INS7_ISA_SB_Lm4ESD_iEESH_SB_Lm5ESD_iEEiiiiiiiii.uses_vcc, 1
	.set _ZN2at6native12_GLOBAL__N_144conv_depthwise3d_cuda_backward_weight_kernelIddLi1ELi1EEEvN5torch10headeronly6detail27GenericPackedTensorAccessorINS5_14TensorAccessorIN3c108ArrayRefIlEEKT_Lm4ENS4_16DefaultPtrTraitsEiEENS_6detail16IndexBoundsCheckILm5EiEESC_Lm5ESD_iEESI_NS6_INS7_ISA_SB_Lm4ESD_iEESH_SB_Lm5ESD_iEEiiiiiiiii.uses_flat_scratch, 0
	.set _ZN2at6native12_GLOBAL__N_144conv_depthwise3d_cuda_backward_weight_kernelIddLi1ELi1EEEvN5torch10headeronly6detail27GenericPackedTensorAccessorINS5_14TensorAccessorIN3c108ArrayRefIlEEKT_Lm4ENS4_16DefaultPtrTraitsEiEENS_6detail16IndexBoundsCheckILm5EiEESC_Lm5ESD_iEESI_NS6_INS7_ISA_SB_Lm4ESD_iEESH_SB_Lm5ESD_iEEiiiiiiiii.has_dyn_sized_stack, 0
	.set _ZN2at6native12_GLOBAL__N_144conv_depthwise3d_cuda_backward_weight_kernelIddLi1ELi1EEEvN5torch10headeronly6detail27GenericPackedTensorAccessorINS5_14TensorAccessorIN3c108ArrayRefIlEEKT_Lm4ENS4_16DefaultPtrTraitsEiEENS_6detail16IndexBoundsCheckILm5EiEESC_Lm5ESD_iEESI_NS6_INS7_ISA_SB_Lm4ESD_iEESH_SB_Lm5ESD_iEEiiiiiiiii.has_recursion, 0
	.set _ZN2at6native12_GLOBAL__N_144conv_depthwise3d_cuda_backward_weight_kernelIddLi1ELi1EEEvN5torch10headeronly6detail27GenericPackedTensorAccessorINS5_14TensorAccessorIN3c108ArrayRefIlEEKT_Lm4ENS4_16DefaultPtrTraitsEiEENS_6detail16IndexBoundsCheckILm5EiEESC_Lm5ESD_iEESI_NS6_INS7_ISA_SB_Lm4ESD_iEESH_SB_Lm5ESD_iEEiiiiiiiii.has_indirect_call, 0
	.section	.AMDGPU.csdata,"",@progbits
; Kernel info:
; codeLenInByte = 1816
; TotalNumSgprs: 54
; NumVgprs: 22
; ScratchSize: 0
; MemoryBound: 0
; FloatMode: 240
; IeeeMode: 1
; LDSByteSize: 0 bytes/workgroup (compile time only)
; SGPRBlocks: 6
; VGPRBlocks: 5
; NumSGPRsForWavesPerEU: 54
; NumVGPRsForWavesPerEU: 22
; Occupancy: 10
; WaveLimiterHint : 1
; COMPUTE_PGM_RSRC2:SCRATCH_EN: 0
; COMPUTE_PGM_RSRC2:USER_SGPR: 6
; COMPUTE_PGM_RSRC2:TRAP_HANDLER: 0
; COMPUTE_PGM_RSRC2:TGID_X_EN: 1
; COMPUTE_PGM_RSRC2:TGID_Y_EN: 0
; COMPUTE_PGM_RSRC2:TGID_Z_EN: 0
; COMPUTE_PGM_RSRC2:TIDIG_COMP_CNT: 0
	.section	.text._ZN2at6native12_GLOBAL__N_144conv_depthwise3d_cuda_backward_weight_kernelIddLi2ELi2EEEvN5torch10headeronly6detail27GenericPackedTensorAccessorINS5_14TensorAccessorIN3c108ArrayRefIlEEKT_Lm4ENS4_16DefaultPtrTraitsEiEENS_6detail16IndexBoundsCheckILm5EiEESC_Lm5ESD_iEESI_NS6_INS7_ISA_SB_Lm4ESD_iEESH_SB_Lm5ESD_iEEiiiiiiiii,"axG",@progbits,_ZN2at6native12_GLOBAL__N_144conv_depthwise3d_cuda_backward_weight_kernelIddLi2ELi2EEEvN5torch10headeronly6detail27GenericPackedTensorAccessorINS5_14TensorAccessorIN3c108ArrayRefIlEEKT_Lm4ENS4_16DefaultPtrTraitsEiEENS_6detail16IndexBoundsCheckILm5EiEESC_Lm5ESD_iEESI_NS6_INS7_ISA_SB_Lm4ESD_iEESH_SB_Lm5ESD_iEEiiiiiiiii,comdat
	.globl	_ZN2at6native12_GLOBAL__N_144conv_depthwise3d_cuda_backward_weight_kernelIddLi2ELi2EEEvN5torch10headeronly6detail27GenericPackedTensorAccessorINS5_14TensorAccessorIN3c108ArrayRefIlEEKT_Lm4ENS4_16DefaultPtrTraitsEiEENS_6detail16IndexBoundsCheckILm5EiEESC_Lm5ESD_iEESI_NS6_INS7_ISA_SB_Lm4ESD_iEESH_SB_Lm5ESD_iEEiiiiiiiii ; -- Begin function _ZN2at6native12_GLOBAL__N_144conv_depthwise3d_cuda_backward_weight_kernelIddLi2ELi2EEEvN5torch10headeronly6detail27GenericPackedTensorAccessorINS5_14TensorAccessorIN3c108ArrayRefIlEEKT_Lm4ENS4_16DefaultPtrTraitsEiEENS_6detail16IndexBoundsCheckILm5EiEESC_Lm5ESD_iEESI_NS6_INS7_ISA_SB_Lm4ESD_iEESH_SB_Lm5ESD_iEEiiiiiiiii
	.p2align	8
	.type	_ZN2at6native12_GLOBAL__N_144conv_depthwise3d_cuda_backward_weight_kernelIddLi2ELi2EEEvN5torch10headeronly6detail27GenericPackedTensorAccessorINS5_14TensorAccessorIN3c108ArrayRefIlEEKT_Lm4ENS4_16DefaultPtrTraitsEiEENS_6detail16IndexBoundsCheckILm5EiEESC_Lm5ESD_iEESI_NS6_INS7_ISA_SB_Lm4ESD_iEESH_SB_Lm5ESD_iEEiiiiiiiii,@function
_ZN2at6native12_GLOBAL__N_144conv_depthwise3d_cuda_backward_weight_kernelIddLi2ELi2EEEvN5torch10headeronly6detail27GenericPackedTensorAccessorINS5_14TensorAccessorIN3c108ArrayRefIlEEKT_Lm4ENS4_16DefaultPtrTraitsEiEENS_6detail16IndexBoundsCheckILm5EiEESC_Lm5ESD_iEESI_NS6_INS7_ISA_SB_Lm4ESD_iEESH_SB_Lm5ESD_iEEiiiiiiiii: ; @_ZN2at6native12_GLOBAL__N_144conv_depthwise3d_cuda_backward_weight_kernelIddLi2ELi2EEEvN5torch10headeronly6detail27GenericPackedTensorAccessorINS5_14TensorAccessorIN3c108ArrayRefIlEEKT_Lm4ENS4_16DefaultPtrTraitsEiEENS_6detail16IndexBoundsCheckILm5EiEESC_Lm5ESD_iEESI_NS6_INS7_ISA_SB_Lm4ESD_iEESH_SB_Lm5ESD_iEEiiiiiiiii
; %bb.0:
	s_load_dwordx4 s[8:11], s[4:5], 0x70
	s_add_u32 s0, s4, 0x60
	s_addc_u32 s1, s5, 0
	s_load_dwordx4 s[16:19], s[4:5], 0x3c
	s_load_dwordx4 s[20:23], s[4:5], 0xc
	s_waitcnt lgkmcnt(0)
	v_cvt_f32_u32_e32 v1, s10
	v_cvt_f32_u32_e32 v2, s9
	s_sub_i32 s2, 0, s10
	v_rcp_iflag_f32_e32 v1, v1
	v_rcp_iflag_f32_e32 v2, v2
	v_mul_f32_e32 v1, 0x4f7ffffe, v1
	v_cvt_u32_f32_e32 v1, v1
	v_mul_f32_e32 v2, 0x4f7ffffe, v2
	v_cvt_u32_f32_e32 v2, v2
	v_readfirstlane_b32 s3, v1
	s_mul_i32 s2, s2, s3
	s_mul_hi_u32 s2, s3, s2
	s_add_i32 s3, s3, s2
	s_mul_hi_u32 s2, s6, s3
	s_mul_i32 s3, s2, s10
	s_sub_i32 s3, s6, s3
	s_add_i32 s12, s2, 1
	s_sub_i32 s13, s3, s10
	s_cmp_ge_u32 s3, s10
	s_cselect_b32 s2, s12, s2
	s_cselect_b32 s3, s13, s3
	s_add_i32 s12, s2, 1
	s_cmp_ge_u32 s3, s10
	v_cvt_f32_u32_e32 v1, s8
	v_readfirstlane_b32 s7, v2
	s_cselect_b32 s2, s12, s2
	s_sub_i32 s3, 0, s9
	s_mul_i32 s3, s3, s7
	s_mul_hi_u32 s3, s7, s3
	s_add_i32 s7, s7, s3
	v_rcp_iflag_f32_e32 v1, v1
	s_mul_hi_u32 s3, s2, s7
	s_mul_i32 s7, s3, s9
	s_sub_i32 s7, s2, s7
	s_add_i32 s12, s3, 1
	s_sub_i32 s13, s7, s9
	v_mul_f32_e32 v1, 0x4f7ffffe, v1
	s_cmp_ge_u32 s7, s9
	v_cvt_u32_f32_e32 v1, v1
	s_cselect_b32 s3, s12, s3
	s_cselect_b32 s7, s13, s7
	s_add_i32 s12, s3, 1
	s_cmp_ge_u32 s7, s9
	s_cselect_b32 s3, s12, s3
	s_sub_i32 s7, 0, s8
	v_readfirstlane_b32 s12, v1
	s_mul_i32 s7, s7, s12
	s_mul_hi_u32 s7, s12, s7
	s_add_i32 s12, s12, s7
	s_mul_hi_u32 s7, s3, s12
	s_mul_i32 s12, s7, s8
	s_sub_i32 s12, s3, s12
	s_add_i32 s13, s7, 1
	s_sub_i32 s14, s12, s8
	s_cmp_ge_u32 s12, s8
	s_cselect_b32 s7, s13, s7
	s_cselect_b32 s12, s14, s12
	s_add_i32 s13, s7, 1
	s_cmp_ge_u32 s12, s8
	s_cselect_b32 s33, s13, s7
	s_abs_i32 s7, s16
	v_cvt_f32_u32_e32 v1, s7
	s_sub_i32 s14, 0, s7
	s_abs_i32 s13, s20
	s_xor_b32 s12, s20, s16
	v_rcp_iflag_f32_e32 v1, v1
	s_ashr_i32 s12, s12, 31
	v_mul_f32_e32 v1, 0x4f7ffffe, v1
	v_cvt_u32_f32_e32 v1, v1
	v_readfirstlane_b32 s15, v1
	s_mul_i32 s14, s14, s15
	s_mul_hi_u32 s14, s15, s14
	s_add_i32 s15, s15, s14
	s_mul_hi_u32 s14, s13, s15
	s_mul_i32 s15, s14, s7
	s_sub_i32 s13, s13, s15
	s_add_i32 s15, s14, 1
	s_sub_i32 s16, s13, s7
	s_cmp_ge_u32 s13, s7
	s_cselect_b32 s14, s15, s14
	s_cselect_b32 s13, s16, s13
	s_add_i32 s15, s14, 1
	s_cmp_ge_u32 s13, s7
	s_cselect_b32 s7, s15, s14
	s_xor_b32 s7, s7, s12
	s_sub_i32 s25, s7, s12
	s_abs_i32 s24, s25
	v_cvt_f32_u32_e32 v1, s24
	s_load_dword s7, s[4:5], 0x68
	v_rcp_iflag_f32_e32 v1, v1
	s_waitcnt lgkmcnt(0)
	s_cmp_ge_i32 s33, s7
	v_mul_f32_e32 v1, 0x4f7ffffe, v1
	v_cvt_u32_f32_e32 v1, v1
	v_readfirstlane_b32 s26, v1
	s_cbranch_scc1 .LBB33_28
; %bb.1:
	s_load_dwordx2 s[34:35], s[0:1], 0x0
	s_load_dwordx4 s[12:15], s[0:1], 0x24
	s_mul_i32 s0, s2, s10
	s_sub_i32 s10, s6, s0
	s_mul_i32 s0, s3, s9
	s_sub_i32 s16, s2, s0
	s_load_dword s0, s[4:5], 0xc4
	s_load_dword s45, s[4:5], 0x38
	s_mul_i32 s1, s33, s8
	v_lshrrev_b32_e32 v10, 6, v0
	v_mov_b32_e32 v1, 0
	s_sub_i32 s20, s3, s1
	s_waitcnt lgkmcnt(0)
	s_mul_i32 s45, s45, s21
	s_and_b32 s44, s0, 0xffff
	v_mov_b32_e32 v2, 0
	v_cmp_gt_i32_e32 vcc, s45, v10
	s_and_saveexec_b64 s[6:7], vcc
	s_cbranch_execz .LBB33_23
; %bb.2:
	s_sub_i32 s3, 0, s24
	s_mul_i32 s3, s3, s26
	s_mul_hi_u32 s3, s26, s3
	s_abs_i32 s2, s33
	s_add_i32 s26, s26, s3
	s_ashr_i32 s0, s33, 31
	s_ashr_i32 s1, s25, 31
	s_mul_hi_u32 s3, s2, s26
	s_xor_b32 s28, s0, s1
	s_mul_i32 s0, s3, s24
	s_sub_i32 s0, s2, s0
	s_lshr_b32 s46, s44, 6
	s_add_i32 s1, s3, 1
	s_sub_i32 s2, s0, s24
	s_cmp_ge_u32 s0, s24
	s_cselect_b32 s1, s1, s3
	s_cselect_b32 s0, s2, s0
	s_add_i32 s2, s1, 1
	s_cmp_ge_u32 s0, s24
	s_cselect_b32 s29, s2, s1
	s_abs_i32 s42, s21
	v_cvt_f32_u32_e32 v1, s42
	s_sub_i32 s0, 0, s42
	s_ashr_i32 s43, s21, 31
	v_and_b32_e32 v4, 63, v0
	v_rcp_iflag_f32_e32 v1, v1
	v_mov_b32_e32 v13, 0
	v_lshlrev_b32_e32 v16, 3, v4
	v_mul_f32_e32 v1, 0x4f7ffffe, v1
	v_cvt_u32_f32_e32 v1, v1
	v_mul_lo_u32 v2, s0, v1
	s_load_dwordx4 s[0:3], s[4:5], 0x9c
	s_load_dwordx2 s[8:9], s[4:5], 0xac
	s_load_dwordx2 s[36:37], s[4:5], 0x0
	s_load_dwordx4 s[24:27], s[4:5], 0x1c
	v_mul_hi_u32 v2, v1, v2
	s_waitcnt lgkmcnt(0)
	s_mul_i32 s3, s20, s3
	s_sub_i32 s27, s3, s0
	s_xor_b32 s0, s29, s28
	s_sub_i32 s0, s0, s28
	s_load_dwordx2 s[40:41], s[4:5], 0x30
	s_load_dwordx4 s[28:31], s[4:5], 0x4c
	s_mul_i32 s38, s25, s33
	s_ashr_i32 s39, s38, 31
	s_lshl_b64 s[4:5], s[38:39], 3
	s_add_u32 s25, s36, s4
	s_waitcnt lgkmcnt(0)
	s_mul_i32 s4, s29, s0
	s_addc_u32 s31, s37, s5
	s_ashr_i32 s5, s4, 31
	s_lshl_b64 s[4:5], s[4:5], 3
	s_add_u32 s29, s40, s4
	s_addc_u32 s47, s41, s5
	s_abs_i32 s0, s23
	v_cvt_f32_u32_e32 v3, s0
	v_add_u32_e32 v1, v1, v2
	v_mul_hi_u32 v1, v10, v1
	s_sub_i32 s3, 0, s0
	v_rcp_iflag_f32_e32 v3, v3
	v_mul_lo_u32 v2, v1, s42
	v_add_u32_e32 v5, 1, v1
	v_mul_f32_e32 v3, 0x4f7ffffe, v3
	v_cvt_u32_f32_e32 v3, v3
	v_sub_u32_e32 v2, v10, v2
	v_cmp_le_u32_e32 vcc, s42, v2
	v_cndmask_b32_e32 v1, v1, v5, vcc
	v_subrev_u32_e32 v5, s42, v2
	v_cndmask_b32_e32 v2, v2, v5, vcc
	v_mul_lo_u32 v5, s3, v3
	v_cmp_le_u32_e32 vcc, s42, v2
	v_add_u32_e32 v6, 1, v1
	v_cndmask_b32_e32 v1, v1, v6, vcc
	v_mul_hi_u32 v2, v3, v5
	v_xor_b32_e32 v1, s43, v1
	v_subrev_u32_e32 v11, s43, v1
	v_mul_lo_u32 v1, v11, s21
	v_add_u32_e32 v2, v3, v2
	v_mul_hi_u32 v2, v4, v2
	s_mul_i32 s3, s10, s9
	v_sub_u32_e32 v12, v10, v1
	s_sub_i32 s48, s3, s2
	v_mul_lo_u32 v1, v2, s0
	v_add_u32_e32 v3, 1, v2
	s_ashr_i32 s2, s23, 31
	v_sub_u32_e32 v1, v4, v1
	v_cmp_le_u32_e32 vcc, s0, v1
	v_cndmask_b32_e32 v2, v2, v3, vcc
	v_subrev_u32_e32 v3, s0, v1
	v_cndmask_b32_e32 v1, v1, v3, vcc
	v_add_u32_e32 v3, 1, v2
	v_cmp_le_u32_e32 vcc, s0, v1
	v_cndmask_b32_e32 v1, v2, v3, vcc
	v_xor_b32_e32 v1, s2, v1
	v_subrev_u32_e32 v14, s2, v1
	v_mul_lo_u32 v1, v14, s23
	s_mul_i32 s0, s16, s8
	s_sub_i32 s49, s0, s1
	v_cmp_gt_i32_e64 s[0:1], s22, v14
	v_sub_u32_e32 v15, v4, v1
	v_mov_b32_e32 v1, 0
	v_mov_b32_e32 v2, 0
	s_mov_b64 s[8:9], 0
	s_branch .LBB33_6
.LBB33_3:                               ;   in Loop: Header=BB33_6 Depth=1
	s_or_b64 exec, exec, s[40:41]
.LBB33_4:                               ;   in Loop: Header=BB33_6 Depth=1
	s_or_b64 exec, exec, s[38:39]
.LBB33_5:                               ;   in Loop: Header=BB33_6 Depth=1
	s_or_b64 exec, exec, s[36:37]
	v_add_u32_e32 v10, s46, v10
	v_cmp_le_i32_e32 vcc, s45, v10
	s_or_b64 s[8:9], vcc, s[8:9]
	v_add_u32_e32 v12, s46, v12
	s_andn2_b64 exec, exec, s[8:9]
	s_cbranch_execz .LBB33_22
.LBB33_6:                               ; =>This Loop Header: Depth=1
                                        ;     Child Loop BB33_8 Depth 2
                                        ;     Child Loop BB33_14 Depth 2
                                        ;       Child Loop BB33_20 Depth 3
	v_cmp_le_i32_e32 vcc, s21, v12
	s_and_saveexec_b64 s[2:3], vcc
	s_cbranch_execz .LBB33_10
; %bb.7:                                ;   in Loop: Header=BB33_6 Depth=1
	s_mov_b64 s[4:5], 0
.LBB33_8:                               ;   Parent Loop BB33_6 Depth=1
                                        ; =>  This Inner Loop Header: Depth=2
	v_subrev_u32_e32 v12, s21, v12
	v_cmp_gt_i32_e32 vcc, s21, v12
	s_or_b64 s[4:5], vcc, s[4:5]
	v_add_u32_e32 v11, 1, v11
	s_andn2_b64 exec, exec, s[4:5]
	s_cbranch_execnz .LBB33_8
; %bb.9:                                ;   in Loop: Header=BB33_6 Depth=1
	s_or_b64 exec, exec, s[4:5]
.LBB33_10:                              ;   in Loop: Header=BB33_6 Depth=1
	s_or_b64 exec, exec, s[2:3]
	v_mul_lo_u32 v3, v12, s15
	v_add_u32_e32 v3, s27, v3
	v_cmp_lt_i32_e32 vcc, -1, v3
	v_cmp_gt_i32_e64 s[2:3], s17, v3
	s_and_b64 s[2:3], vcc, s[2:3]
	s_and_saveexec_b64 s[36:37], s[2:3]
	s_cbranch_execz .LBB33_5
; %bb.11:                               ;   in Loop: Header=BB33_6 Depth=1
	s_and_saveexec_b64 s[38:39], s[0:1]
	s_cbranch_execz .LBB33_4
; %bb.12:                               ;   in Loop: Header=BB33_6 Depth=1
	v_mul_lo_u32 v4, s28, v11
	v_mul_lo_u32 v3, s30, v3
	v_mov_b32_e32 v6, s47
	s_mov_b64 s[40:41], 0
	v_ashrrev_i32_e32 v5, 31, v4
	v_lshlrev_b64 v[4:5], 3, v[4:5]
	v_mov_b32_e32 v19, v15
	v_add_co_u32_e32 v7, vcc, s29, v4
	v_addc_co_u32_e32 v6, vcc, v6, v5, vcc
	v_ashrrev_i32_e32 v4, 31, v3
	v_mul_lo_u32 v5, s24, v11
	v_lshlrev_b64 v[3:4], 3, v[3:4]
	v_mov_b32_e32 v20, v14
	v_add_co_u32_e32 v17, vcc, v7, v3
	v_addc_co_u32_e32 v18, vcc, v6, v4, vcc
	v_ashrrev_i32_e32 v6, 31, v5
	v_lshlrev_b64 v[3:4], 3, v[5:6]
	v_mul_lo_u32 v5, s26, v12
	v_mov_b32_e32 v6, s31
	v_add_co_u32_e32 v7, vcc, s25, v3
	v_addc_co_u32_e32 v8, vcc, v6, v4, vcc
	v_ashrrev_i32_e32 v6, 31, v5
	v_lshlrev_b64 v[3:4], 3, v[5:6]
	v_add_co_u32_e32 v3, vcc, v7, v3
	v_addc_co_u32_e32 v4, vcc, v8, v4, vcc
	v_add_co_u32_e32 v3, vcc, v3, v16
	v_addc_co_u32_e32 v4, vcc, 0, v4, vcc
	s_branch .LBB33_14
.LBB33_13:                              ;   in Loop: Header=BB33_14 Depth=2
	s_or_b64 exec, exec, s[2:3]
	s_waitcnt vmcnt(0)
	v_fma_f64 v[1:2], v[5:6], v[7:8], v[1:2]
	v_add_co_u32_e32 v3, vcc, 0x200, v3
	v_cmp_le_i32_e64 s[2:3], s22, v20
	s_or_b64 s[40:41], s[2:3], s[40:41]
	v_addc_co_u32_e32 v4, vcc, 0, v4, vcc
	s_andn2_b64 exec, exec, s[40:41]
	s_cbranch_execz .LBB33_3
.LBB33_14:                              ;   Parent Loop BB33_6 Depth=1
                                        ; =>  This Loop Header: Depth=2
                                        ;       Child Loop BB33_20 Depth 3
	global_load_dwordx2 v[5:6], v[3:4], off
	v_lshl_add_u32 v9, v19, 1, s48
	v_mov_b32_e32 v7, 0
	v_mov_b32_e32 v8, 0
	v_cmp_lt_i32_e32 vcc, -1, v9
	s_and_saveexec_b64 s[42:43], vcc
	s_cbranch_execz .LBB33_18
; %bb.15:                               ;   in Loop: Header=BB33_14 Depth=2
	v_lshl_add_u32 v21, v20, 1, s49
	v_cmp_gt_i32_e32 vcc, s19, v9
	v_cmp_gt_i32_e64 s[4:5], s18, v21
	v_cmp_lt_i32_e64 s[2:3], -1, v21
	s_and_b64 s[4:5], vcc, s[4:5]
	v_mov_b32_e32 v7, 0
	v_mov_b32_e32 v8, 0
	s_and_b64 s[4:5], s[4:5], s[2:3]
	s_and_saveexec_b64 s[2:3], s[4:5]
	s_cbranch_execz .LBB33_17
; %bb.16:                               ;   in Loop: Header=BB33_14 Depth=2
	v_mad_u64_u32 v[7:8], s[4:5], v21, s19, v[9:10]
	v_mov_b32_e32 v8, v13
	v_lshlrev_b64 v[7:8], 3, v[7:8]
	v_add_co_u32_e32 v7, vcc, v17, v7
	v_addc_co_u32_e32 v8, vcc, v18, v8, vcc
	global_load_dwordx2 v[7:8], v[7:8], off
.LBB33_17:                              ;   in Loop: Header=BB33_14 Depth=2
	s_or_b64 exec, exec, s[2:3]
.LBB33_18:                              ;   in Loop: Header=BB33_14 Depth=2
	s_or_b64 exec, exec, s[42:43]
	v_add_u32_e32 v19, 64, v19
	v_cmp_le_i32_e32 vcc, s23, v19
	s_and_saveexec_b64 s[2:3], vcc
	s_cbranch_execz .LBB33_13
; %bb.19:                               ;   in Loop: Header=BB33_14 Depth=2
	s_mov_b64 s[4:5], 0
.LBB33_20:                              ;   Parent Loop BB33_6 Depth=1
                                        ;     Parent Loop BB33_14 Depth=2
                                        ; =>    This Inner Loop Header: Depth=3
	v_subrev_u32_e32 v19, s23, v19
	v_cmp_gt_i32_e32 vcc, s23, v19
	s_or_b64 s[4:5], vcc, s[4:5]
	v_add_u32_e32 v20, 1, v20
	s_andn2_b64 exec, exec, s[4:5]
	s_cbranch_execnz .LBB33_20
; %bb.21:                               ;   in Loop: Header=BB33_14 Depth=2
	s_or_b64 exec, exec, s[4:5]
	s_branch .LBB33_13
.LBB33_22:
	s_or_b64 exec, exec, s[8:9]
.LBB33_23:
	s_or_b64 exec, exec, s[6:7]
	s_bcnt1_i32_b32 s0, s44
	v_lshl_add_u32 v3, v0, 3, 0
	s_cmp_lg_u32 s0, 1
	s_mov_b64 s[0:1], -1
	ds_write_b64 v3, v[1:2]
	s_waitcnt lgkmcnt(0)
	s_barrier
	s_cbranch_scc1 .LBB33_32
; %bb.24:
	s_andn2_b64 vcc, exec, s[0:1]
	s_cbranch_vccnz .LBB33_28
.LBB33_25:
	s_cmp_lt_u32 s44, 2
	s_cbranch_scc0 .LBB33_30
.LBB33_26:
	v_cmp_eq_u32_e32 vcc, 0, v0
	s_and_saveexec_b64 s[0:1], vcc
	s_cbranch_execz .LBB33_28
; %bb.27:
	s_mul_i32 s0, s11, s33
	s_ashr_i32 s1, s0, 31
	s_lshl_b64 s[0:1], s[0:1], 3
	s_add_u32 s2, s34, s0
	s_mul_i32 s0, s12, s20
	s_addc_u32 s3, s35, s1
	s_ashr_i32 s1, s0, 31
	s_lshl_b64 s[0:1], s[0:1], 3
	s_add_u32 s2, s2, s0
	s_mul_i32 s0, s13, s16
	s_addc_u32 s3, s3, s1
	s_ashr_i32 s1, s0, 31
	s_lshl_b64 s[0:1], s[0:1], 3
	v_mov_b32_e32 v2, 0
	s_add_u32 s2, s2, s0
	s_mul_i32 s0, s14, s10
	ds_read_b64 v[0:1], v2
	s_addc_u32 s3, s3, s1
	s_ashr_i32 s1, s0, 31
	s_lshl_b64 s[0:1], s[0:1], 3
	s_add_u32 s0, s2, s0
	s_addc_u32 s1, s3, s1
	s_waitcnt lgkmcnt(0)
	global_store_dwordx2 v2, v[0:1], s[0:1]
.LBB33_28:
	s_endpgm
.LBB33_29:                              ;   in Loop: Header=BB33_30 Depth=1
	s_or_b64 exec, exec, s[0:1]
	s_cmp_lt_u32 s44, 4
	s_mov_b32 s44, s2
	s_waitcnt lgkmcnt(0)
	s_barrier
	s_cbranch_scc1 .LBB33_26
.LBB33_30:                              ; =>This Inner Loop Header: Depth=1
	s_lshr_b32 s2, s44, 1
	v_cmp_gt_u32_e32 vcc, s2, v0
	s_and_saveexec_b64 s[0:1], vcc
	s_cbranch_execz .LBB33_29
; %bb.31:                               ;   in Loop: Header=BB33_30 Depth=1
	v_lshl_add_u32 v1, s2, 3, v3
	ds_read_b64 v[1:2], v1
	ds_read_b64 v[4:5], v3
	s_waitcnt lgkmcnt(0)
	v_add_f64 v[1:2], v[1:2], v[4:5]
	ds_write_b64 v3, v[1:2]
	s_branch .LBB33_29
.LBB33_32:
	s_trap 2
	; divergent unreachable
	s_cbranch_execz .LBB33_25
	s_branch .LBB33_28
	.section	.rodata,"a",@progbits
	.p2align	6, 0x0
	.amdhsa_kernel _ZN2at6native12_GLOBAL__N_144conv_depthwise3d_cuda_backward_weight_kernelIddLi2ELi2EEEvN5torch10headeronly6detail27GenericPackedTensorAccessorINS5_14TensorAccessorIN3c108ArrayRefIlEEKT_Lm4ENS4_16DefaultPtrTraitsEiEENS_6detail16IndexBoundsCheckILm5EiEESC_Lm5ESD_iEESI_NS6_INS7_ISA_SB_Lm4ESD_iEESH_SB_Lm5ESD_iEEiiiiiiiii
		.amdhsa_group_segment_fixed_size 0
		.amdhsa_private_segment_fixed_size 0
		.amdhsa_kernarg_size 440
		.amdhsa_user_sgpr_count 6
		.amdhsa_user_sgpr_private_segment_buffer 1
		.amdhsa_user_sgpr_dispatch_ptr 0
		.amdhsa_user_sgpr_queue_ptr 0
		.amdhsa_user_sgpr_kernarg_segment_ptr 1
		.amdhsa_user_sgpr_dispatch_id 0
		.amdhsa_user_sgpr_flat_scratch_init 0
		.amdhsa_user_sgpr_private_segment_size 0
		.amdhsa_uses_dynamic_stack 0
		.amdhsa_system_sgpr_private_segment_wavefront_offset 0
		.amdhsa_system_sgpr_workgroup_id_x 1
		.amdhsa_system_sgpr_workgroup_id_y 0
		.amdhsa_system_sgpr_workgroup_id_z 0
		.amdhsa_system_sgpr_workgroup_info 0
		.amdhsa_system_vgpr_workitem_id 0
		.amdhsa_next_free_vgpr 22
		.amdhsa_next_free_sgpr 50
		.amdhsa_reserve_vcc 1
		.amdhsa_reserve_flat_scratch 0
		.amdhsa_float_round_mode_32 0
		.amdhsa_float_round_mode_16_64 0
		.amdhsa_float_denorm_mode_32 3
		.amdhsa_float_denorm_mode_16_64 3
		.amdhsa_dx10_clamp 1
		.amdhsa_ieee_mode 1
		.amdhsa_fp16_overflow 0
		.amdhsa_exception_fp_ieee_invalid_op 0
		.amdhsa_exception_fp_denorm_src 0
		.amdhsa_exception_fp_ieee_div_zero 0
		.amdhsa_exception_fp_ieee_overflow 0
		.amdhsa_exception_fp_ieee_underflow 0
		.amdhsa_exception_fp_ieee_inexact 0
		.amdhsa_exception_int_div_zero 0
	.end_amdhsa_kernel
	.section	.text._ZN2at6native12_GLOBAL__N_144conv_depthwise3d_cuda_backward_weight_kernelIddLi2ELi2EEEvN5torch10headeronly6detail27GenericPackedTensorAccessorINS5_14TensorAccessorIN3c108ArrayRefIlEEKT_Lm4ENS4_16DefaultPtrTraitsEiEENS_6detail16IndexBoundsCheckILm5EiEESC_Lm5ESD_iEESI_NS6_INS7_ISA_SB_Lm4ESD_iEESH_SB_Lm5ESD_iEEiiiiiiiii,"axG",@progbits,_ZN2at6native12_GLOBAL__N_144conv_depthwise3d_cuda_backward_weight_kernelIddLi2ELi2EEEvN5torch10headeronly6detail27GenericPackedTensorAccessorINS5_14TensorAccessorIN3c108ArrayRefIlEEKT_Lm4ENS4_16DefaultPtrTraitsEiEENS_6detail16IndexBoundsCheckILm5EiEESC_Lm5ESD_iEESI_NS6_INS7_ISA_SB_Lm4ESD_iEESH_SB_Lm5ESD_iEEiiiiiiiii,comdat
.Lfunc_end33:
	.size	_ZN2at6native12_GLOBAL__N_144conv_depthwise3d_cuda_backward_weight_kernelIddLi2ELi2EEEvN5torch10headeronly6detail27GenericPackedTensorAccessorINS5_14TensorAccessorIN3c108ArrayRefIlEEKT_Lm4ENS4_16DefaultPtrTraitsEiEENS_6detail16IndexBoundsCheckILm5EiEESC_Lm5ESD_iEESI_NS6_INS7_ISA_SB_Lm4ESD_iEESH_SB_Lm5ESD_iEEiiiiiiiii, .Lfunc_end33-_ZN2at6native12_GLOBAL__N_144conv_depthwise3d_cuda_backward_weight_kernelIddLi2ELi2EEEvN5torch10headeronly6detail27GenericPackedTensorAccessorINS5_14TensorAccessorIN3c108ArrayRefIlEEKT_Lm4ENS4_16DefaultPtrTraitsEiEENS_6detail16IndexBoundsCheckILm5EiEESC_Lm5ESD_iEESI_NS6_INS7_ISA_SB_Lm4ESD_iEESH_SB_Lm5ESD_iEEiiiiiiiii
                                        ; -- End function
	.set _ZN2at6native12_GLOBAL__N_144conv_depthwise3d_cuda_backward_weight_kernelIddLi2ELi2EEEvN5torch10headeronly6detail27GenericPackedTensorAccessorINS5_14TensorAccessorIN3c108ArrayRefIlEEKT_Lm4ENS4_16DefaultPtrTraitsEiEENS_6detail16IndexBoundsCheckILm5EiEESC_Lm5ESD_iEESI_NS6_INS7_ISA_SB_Lm4ESD_iEESH_SB_Lm5ESD_iEEiiiiiiiii.num_vgpr, 22
	.set _ZN2at6native12_GLOBAL__N_144conv_depthwise3d_cuda_backward_weight_kernelIddLi2ELi2EEEvN5torch10headeronly6detail27GenericPackedTensorAccessorINS5_14TensorAccessorIN3c108ArrayRefIlEEKT_Lm4ENS4_16DefaultPtrTraitsEiEENS_6detail16IndexBoundsCheckILm5EiEESC_Lm5ESD_iEESI_NS6_INS7_ISA_SB_Lm4ESD_iEESH_SB_Lm5ESD_iEEiiiiiiiii.num_agpr, 0
	.set _ZN2at6native12_GLOBAL__N_144conv_depthwise3d_cuda_backward_weight_kernelIddLi2ELi2EEEvN5torch10headeronly6detail27GenericPackedTensorAccessorINS5_14TensorAccessorIN3c108ArrayRefIlEEKT_Lm4ENS4_16DefaultPtrTraitsEiEENS_6detail16IndexBoundsCheckILm5EiEESC_Lm5ESD_iEESI_NS6_INS7_ISA_SB_Lm4ESD_iEESH_SB_Lm5ESD_iEEiiiiiiiii.numbered_sgpr, 50
	.set _ZN2at6native12_GLOBAL__N_144conv_depthwise3d_cuda_backward_weight_kernelIddLi2ELi2EEEvN5torch10headeronly6detail27GenericPackedTensorAccessorINS5_14TensorAccessorIN3c108ArrayRefIlEEKT_Lm4ENS4_16DefaultPtrTraitsEiEENS_6detail16IndexBoundsCheckILm5EiEESC_Lm5ESD_iEESI_NS6_INS7_ISA_SB_Lm4ESD_iEESH_SB_Lm5ESD_iEEiiiiiiiii.num_named_barrier, 0
	.set _ZN2at6native12_GLOBAL__N_144conv_depthwise3d_cuda_backward_weight_kernelIddLi2ELi2EEEvN5torch10headeronly6detail27GenericPackedTensorAccessorINS5_14TensorAccessorIN3c108ArrayRefIlEEKT_Lm4ENS4_16DefaultPtrTraitsEiEENS_6detail16IndexBoundsCheckILm5EiEESC_Lm5ESD_iEESI_NS6_INS7_ISA_SB_Lm4ESD_iEESH_SB_Lm5ESD_iEEiiiiiiiii.private_seg_size, 0
	.set _ZN2at6native12_GLOBAL__N_144conv_depthwise3d_cuda_backward_weight_kernelIddLi2ELi2EEEvN5torch10headeronly6detail27GenericPackedTensorAccessorINS5_14TensorAccessorIN3c108ArrayRefIlEEKT_Lm4ENS4_16DefaultPtrTraitsEiEENS_6detail16IndexBoundsCheckILm5EiEESC_Lm5ESD_iEESI_NS6_INS7_ISA_SB_Lm4ESD_iEESH_SB_Lm5ESD_iEEiiiiiiiii.uses_vcc, 1
	.set _ZN2at6native12_GLOBAL__N_144conv_depthwise3d_cuda_backward_weight_kernelIddLi2ELi2EEEvN5torch10headeronly6detail27GenericPackedTensorAccessorINS5_14TensorAccessorIN3c108ArrayRefIlEEKT_Lm4ENS4_16DefaultPtrTraitsEiEENS_6detail16IndexBoundsCheckILm5EiEESC_Lm5ESD_iEESI_NS6_INS7_ISA_SB_Lm4ESD_iEESH_SB_Lm5ESD_iEEiiiiiiiii.uses_flat_scratch, 0
	.set _ZN2at6native12_GLOBAL__N_144conv_depthwise3d_cuda_backward_weight_kernelIddLi2ELi2EEEvN5torch10headeronly6detail27GenericPackedTensorAccessorINS5_14TensorAccessorIN3c108ArrayRefIlEEKT_Lm4ENS4_16DefaultPtrTraitsEiEENS_6detail16IndexBoundsCheckILm5EiEESC_Lm5ESD_iEESI_NS6_INS7_ISA_SB_Lm4ESD_iEESH_SB_Lm5ESD_iEEiiiiiiiii.has_dyn_sized_stack, 0
	.set _ZN2at6native12_GLOBAL__N_144conv_depthwise3d_cuda_backward_weight_kernelIddLi2ELi2EEEvN5torch10headeronly6detail27GenericPackedTensorAccessorINS5_14TensorAccessorIN3c108ArrayRefIlEEKT_Lm4ENS4_16DefaultPtrTraitsEiEENS_6detail16IndexBoundsCheckILm5EiEESC_Lm5ESD_iEESI_NS6_INS7_ISA_SB_Lm4ESD_iEESH_SB_Lm5ESD_iEEiiiiiiiii.has_recursion, 0
	.set _ZN2at6native12_GLOBAL__N_144conv_depthwise3d_cuda_backward_weight_kernelIddLi2ELi2EEEvN5torch10headeronly6detail27GenericPackedTensorAccessorINS5_14TensorAccessorIN3c108ArrayRefIlEEKT_Lm4ENS4_16DefaultPtrTraitsEiEENS_6detail16IndexBoundsCheckILm5EiEESC_Lm5ESD_iEESI_NS6_INS7_ISA_SB_Lm4ESD_iEESH_SB_Lm5ESD_iEEiiiiiiiii.has_indirect_call, 0
	.section	.AMDGPU.csdata,"",@progbits
; Kernel info:
; codeLenInByte = 1824
; TotalNumSgprs: 54
; NumVgprs: 22
; ScratchSize: 0
; MemoryBound: 0
; FloatMode: 240
; IeeeMode: 1
; LDSByteSize: 0 bytes/workgroup (compile time only)
; SGPRBlocks: 6
; VGPRBlocks: 5
; NumSGPRsForWavesPerEU: 54
; NumVGPRsForWavesPerEU: 22
; Occupancy: 10
; WaveLimiterHint : 1
; COMPUTE_PGM_RSRC2:SCRATCH_EN: 0
; COMPUTE_PGM_RSRC2:USER_SGPR: 6
; COMPUTE_PGM_RSRC2:TRAP_HANDLER: 0
; COMPUTE_PGM_RSRC2:TGID_X_EN: 1
; COMPUTE_PGM_RSRC2:TGID_Y_EN: 0
; COMPUTE_PGM_RSRC2:TGID_Z_EN: 0
; COMPUTE_PGM_RSRC2:TIDIG_COMP_CNT: 0
	.section	.text._ZN2at6native12_GLOBAL__N_144conv_depthwise3d_cuda_backward_weight_kernelIddLin1ELin1EEEvN5torch10headeronly6detail27GenericPackedTensorAccessorINS5_14TensorAccessorIN3c108ArrayRefIlEEKT_Lm4ENS4_16DefaultPtrTraitsEiEENS_6detail16IndexBoundsCheckILm5EiEESC_Lm5ESD_iEESI_NS6_INS7_ISA_SB_Lm4ESD_iEESH_SB_Lm5ESD_iEEiiiiiiiii,"axG",@progbits,_ZN2at6native12_GLOBAL__N_144conv_depthwise3d_cuda_backward_weight_kernelIddLin1ELin1EEEvN5torch10headeronly6detail27GenericPackedTensorAccessorINS5_14TensorAccessorIN3c108ArrayRefIlEEKT_Lm4ENS4_16DefaultPtrTraitsEiEENS_6detail16IndexBoundsCheckILm5EiEESC_Lm5ESD_iEESI_NS6_INS7_ISA_SB_Lm4ESD_iEESH_SB_Lm5ESD_iEEiiiiiiiii,comdat
	.globl	_ZN2at6native12_GLOBAL__N_144conv_depthwise3d_cuda_backward_weight_kernelIddLin1ELin1EEEvN5torch10headeronly6detail27GenericPackedTensorAccessorINS5_14TensorAccessorIN3c108ArrayRefIlEEKT_Lm4ENS4_16DefaultPtrTraitsEiEENS_6detail16IndexBoundsCheckILm5EiEESC_Lm5ESD_iEESI_NS6_INS7_ISA_SB_Lm4ESD_iEESH_SB_Lm5ESD_iEEiiiiiiiii ; -- Begin function _ZN2at6native12_GLOBAL__N_144conv_depthwise3d_cuda_backward_weight_kernelIddLin1ELin1EEEvN5torch10headeronly6detail27GenericPackedTensorAccessorINS5_14TensorAccessorIN3c108ArrayRefIlEEKT_Lm4ENS4_16DefaultPtrTraitsEiEENS_6detail16IndexBoundsCheckILm5EiEESC_Lm5ESD_iEESI_NS6_INS7_ISA_SB_Lm4ESD_iEESH_SB_Lm5ESD_iEEiiiiiiiii
	.p2align	8
	.type	_ZN2at6native12_GLOBAL__N_144conv_depthwise3d_cuda_backward_weight_kernelIddLin1ELin1EEEvN5torch10headeronly6detail27GenericPackedTensorAccessorINS5_14TensorAccessorIN3c108ArrayRefIlEEKT_Lm4ENS4_16DefaultPtrTraitsEiEENS_6detail16IndexBoundsCheckILm5EiEESC_Lm5ESD_iEESI_NS6_INS7_ISA_SB_Lm4ESD_iEESH_SB_Lm5ESD_iEEiiiiiiiii,@function
_ZN2at6native12_GLOBAL__N_144conv_depthwise3d_cuda_backward_weight_kernelIddLin1ELin1EEEvN5torch10headeronly6detail27GenericPackedTensorAccessorINS5_14TensorAccessorIN3c108ArrayRefIlEEKT_Lm4ENS4_16DefaultPtrTraitsEiEENS_6detail16IndexBoundsCheckILm5EiEESC_Lm5ESD_iEESI_NS6_INS7_ISA_SB_Lm4ESD_iEESH_SB_Lm5ESD_iEEiiiiiiiii: ; @_ZN2at6native12_GLOBAL__N_144conv_depthwise3d_cuda_backward_weight_kernelIddLin1ELin1EEEvN5torch10headeronly6detail27GenericPackedTensorAccessorINS5_14TensorAccessorIN3c108ArrayRefIlEEKT_Lm4ENS4_16DefaultPtrTraitsEiEENS_6detail16IndexBoundsCheckILm5EiEESC_Lm5ESD_iEESI_NS6_INS7_ISA_SB_Lm4ESD_iEESH_SB_Lm5ESD_iEEiiiiiiiii
; %bb.0:
	s_load_dwordx4 s[16:19], s[4:5], 0x70
	s_add_u32 s28, s4, 0x60
	s_addc_u32 s29, s5, 0
	s_load_dwordx4 s[20:23], s[4:5], 0x3c
	s_load_dwordx4 s[24:27], s[4:5], 0xc
	s_waitcnt lgkmcnt(0)
	v_cvt_f32_u32_e32 v1, s18
	v_cvt_f32_u32_e32 v2, s17
	s_sub_i32 s0, 0, s18
	v_rcp_iflag_f32_e32 v1, v1
	v_rcp_iflag_f32_e32 v2, v2
	v_mul_f32_e32 v1, 0x4f7ffffe, v1
	v_cvt_u32_f32_e32 v1, v1
	v_mul_f32_e32 v2, 0x4f7ffffe, v2
	v_cvt_u32_f32_e32 v2, v2
	v_readfirstlane_b32 s1, v1
	s_mul_i32 s0, s0, s1
	s_mul_hi_u32 s0, s1, s0
	s_add_i32 s1, s1, s0
	s_mul_hi_u32 s0, s6, s1
	s_mul_i32 s1, s0, s18
	s_sub_i32 s1, s6, s1
	s_add_i32 s3, s0, 1
	s_sub_i32 s7, s1, s18
	s_cmp_ge_u32 s1, s18
	s_cselect_b32 s0, s3, s0
	s_cselect_b32 s1, s7, s1
	s_add_i32 s3, s0, 1
	s_cmp_ge_u32 s1, s18
	v_cvt_f32_u32_e32 v1, s16
	v_readfirstlane_b32 s2, v2
	s_cselect_b32 s0, s3, s0
	s_sub_i32 s1, 0, s17
	s_mul_i32 s1, s1, s2
	s_mul_hi_u32 s1, s2, s1
	s_add_i32 s2, s2, s1
	v_rcp_iflag_f32_e32 v1, v1
	s_mul_hi_u32 s1, s0, s2
	s_mul_i32 s2, s1, s17
	s_sub_i32 s2, s0, s2
	s_add_i32 s3, s1, 1
	s_sub_i32 s7, s2, s17
	v_mul_f32_e32 v1, 0x4f7ffffe, v1
	s_cmp_ge_u32 s2, s17
	v_cvt_u32_f32_e32 v1, v1
	s_cselect_b32 s1, s3, s1
	s_cselect_b32 s2, s7, s2
	s_add_i32 s3, s1, 1
	s_cmp_ge_u32 s2, s17
	s_cselect_b32 s7, s3, s1
	s_sub_i32 s1, 0, s16
	v_readfirstlane_b32 s2, v1
	s_mul_i32 s1, s1, s2
	s_mul_hi_u32 s1, s2, s1
	s_add_i32 s2, s2, s1
	s_mul_hi_u32 s1, s7, s2
	s_mul_i32 s2, s1, s16
	s_sub_i32 s2, s7, s2
	s_add_i32 s3, s1, 1
	s_sub_i32 s8, s2, s16
	s_cmp_ge_u32 s2, s16
	s_cselect_b32 s1, s3, s1
	s_cselect_b32 s2, s8, s2
	s_add_i32 s3, s1, 1
	s_cmp_ge_u32 s2, s16
	s_cselect_b32 s33, s3, s1
	s_abs_i32 s1, s20
	v_cvt_f32_u32_e32 v1, s1
	s_sub_i32 s8, 0, s1
	s_abs_i32 s3, s24
	s_xor_b32 s2, s24, s20
	v_rcp_iflag_f32_e32 v1, v1
	s_ashr_i32 s2, s2, 31
	v_mul_f32_e32 v1, 0x4f7ffffe, v1
	v_cvt_u32_f32_e32 v1, v1
	v_readfirstlane_b32 s9, v1
	s_mul_i32 s8, s8, s9
	s_mul_hi_u32 s8, s9, s8
	s_add_i32 s9, s9, s8
	s_mul_hi_u32 s8, s3, s9
	s_mul_i32 s9, s8, s1
	s_sub_i32 s3, s3, s9
	s_add_i32 s9, s8, 1
	s_sub_i32 s10, s3, s1
	s_cmp_ge_u32 s3, s1
	s_cselect_b32 s8, s9, s8
	s_cselect_b32 s3, s10, s3
	s_add_i32 s9, s8, 1
	s_cmp_ge_u32 s3, s1
	s_cselect_b32 s1, s9, s8
	s_xor_b32 s1, s1, s2
	s_sub_i32 s31, s1, s2
	s_abs_i32 s30, s31
	v_cvt_f32_u32_e32 v1, s30
	s_load_dword s1, s[4:5], 0x68
	v_rcp_iflag_f32_e32 v1, v1
	s_waitcnt lgkmcnt(0)
	s_cmp_ge_i32 s33, s1
	v_mul_f32_e32 v1, 0x4f7ffffe, v1
	v_cvt_u32_f32_e32 v1, v1
	v_readfirstlane_b32 s36, v1
	s_cbranch_scc1 .LBB34_28
; %bb.1:
	s_mul_i32 s1, s0, s18
	s_sub_i32 s18, s6, s1
	s_mul_i32 s1, s7, s17
	s_load_dwordx2 s[34:35], s[28:29], 0x0
	s_load_dwordx8 s[8:15], s[28:29], 0x24
	s_sub_i32 s20, s0, s1
	s_load_dwordx4 s[0:3], s[28:29], 0x44
	s_load_dword s6, s[4:5], 0xc4
	s_load_dword s47, s[4:5], 0x38
	s_mul_i32 s16, s33, s16
	v_lshrrev_b32_e32 v10, 6, v0
	v_mov_b32_e32 v1, 0
	s_sub_i32 s24, s7, s16
	s_waitcnt lgkmcnt(0)
	s_mul_i32 s47, s47, s25
	s_and_b32 s46, s6, 0xffff
	v_mov_b32_e32 v2, 0
	v_cmp_gt_i32_e32 vcc, s47, v10
	s_and_saveexec_b64 s[6:7], vcc
	s_cbranch_execz .LBB34_23
; %bb.2:
	s_sub_i32 s29, 0, s30
	s_mul_i32 s29, s29, s36
	s_mul_hi_u32 s29, s36, s29
	s_abs_i32 s28, s33
	s_add_i32 s36, s36, s29
	s_ashr_i32 s16, s33, 31
	s_ashr_i32 s17, s31, 31
	s_mul_hi_u32 s29, s28, s36
	s_xor_b32 s36, s16, s17
	s_mul_i32 s16, s29, s30
	s_sub_i32 s16, s28, s16
	s_lshr_b32 s48, s46, 6
	s_add_i32 s17, s29, 1
	s_sub_i32 s28, s16, s30
	s_cmp_ge_u32 s16, s30
	s_cselect_b32 s17, s17, s29
	s_cselect_b32 s16, s28, s16
	s_add_i32 s28, s17, 1
	s_cmp_ge_u32 s16, s30
	s_cselect_b32 s37, s28, s17
	s_abs_i32 s44, s25
	v_cvt_f32_u32_e32 v1, s44
	s_sub_i32 s16, 0, s44
	s_mul_i32 s1, s24, s1
	s_ashr_i32 s45, s25, 31
	v_rcp_iflag_f32_e32 v1, v1
	v_and_b32_e32 v4, 63, v0
	s_mul_i32 s3, s18, s3
	v_mov_b32_e32 v13, 0
	v_mul_f32_e32 v1, 0x4f7ffffe, v1
	v_cvt_u32_f32_e32 v1, v1
	v_lshlrev_b32_e32 v16, 3, v4
	v_mul_lo_u32 v2, s16, v1
	s_load_dwordx4 s[28:31], s[4:5], 0x1c
	s_load_dwordx2 s[16:17], s[4:5], 0x0
	v_mul_hi_u32 v2, v1, v2
	s_waitcnt lgkmcnt(0)
	s_mul_i32 s40, s29, s33
	s_sub_i32 s29, s1, s14
	s_xor_b32 s1, s37, s36
	s_sub_i32 s1, s1, s36
	s_load_dwordx2 s[42:43], s[4:5], 0x30
	s_load_dwordx4 s[36:39], s[4:5], 0x4c
	s_ashr_i32 s41, s40, 31
	s_lshl_b64 s[4:5], s[40:41], 3
	s_add_u32 s31, s16, s4
	s_waitcnt lgkmcnt(0)
	s_addc_u32 s39, s17, s5
	s_mul_i32 s4, s37, s1
	s_ashr_i32 s5, s4, 31
	s_lshl_b64 s[4:5], s[4:5], 3
	s_add_u32 s37, s42, s4
	s_addc_u32 s49, s43, s5
	s_abs_i32 s1, s27
	v_cvt_f32_u32_e32 v3, s1
	v_add_u32_e32 v1, v1, v2
	v_mul_hi_u32 v1, v10, v1
	s_sub_i32 s4, 0, s1
	v_rcp_iflag_f32_e32 v3, v3
	s_sub_i32 s50, s3, s0
	v_mul_lo_u32 v2, v1, s44
	v_add_u32_e32 v5, 1, v1
	v_mul_f32_e32 v3, 0x4f7ffffe, v3
	v_cvt_u32_f32_e32 v3, v3
	v_sub_u32_e32 v2, v10, v2
	v_cmp_le_u32_e32 vcc, s44, v2
	v_cndmask_b32_e32 v1, v1, v5, vcc
	v_subrev_u32_e32 v5, s44, v2
	v_cndmask_b32_e32 v2, v2, v5, vcc
	v_mul_lo_u32 v5, s4, v3
	v_cmp_le_u32_e32 vcc, s44, v2
	v_add_u32_e32 v6, 1, v1
	v_cndmask_b32_e32 v1, v1, v6, vcc
	v_mul_hi_u32 v2, v3, v5
	v_xor_b32_e32 v1, s45, v1
	v_subrev_u32_e32 v11, s45, v1
	v_mul_lo_u32 v1, v11, s25
	v_add_u32_e32 v2, v3, v2
	v_mul_hi_u32 v2, v4, v2
	s_ashr_i32 s0, s27, 31
	v_sub_u32_e32 v12, v10, v1
	v_mul_lo_u32 v1, v2, s1
	v_add_u32_e32 v3, 1, v2
	v_sub_u32_e32 v1, v4, v1
	v_cmp_le_u32_e32 vcc, s1, v1
	v_cndmask_b32_e32 v2, v2, v3, vcc
	v_subrev_u32_e32 v3, s1, v1
	v_cndmask_b32_e32 v1, v1, v3, vcc
	v_add_u32_e32 v3, 1, v2
	v_cmp_le_u32_e32 vcc, s1, v1
	v_cndmask_b32_e32 v1, v2, v3, vcc
	v_xor_b32_e32 v1, s0, v1
	v_subrev_u32_e32 v14, s0, v1
	v_mul_lo_u32 v1, v14, s27
	s_mul_i32 s0, s20, s2
	s_sub_i32 s51, s0, s15
	v_cmp_gt_i32_e64 s[0:1], s26, v14
	v_sub_u32_e32 v15, v4, v1
	v_mov_b32_e32 v1, 0
	v_mov_b32_e32 v2, 0
	s_mov_b64 s[14:15], 0
	s_branch .LBB34_6
.LBB34_3:                               ;   in Loop: Header=BB34_6 Depth=1
	s_or_b64 exec, exec, s[42:43]
.LBB34_4:                               ;   in Loop: Header=BB34_6 Depth=1
	s_or_b64 exec, exec, s[40:41]
.LBB34_5:                               ;   in Loop: Header=BB34_6 Depth=1
	s_or_b64 exec, exec, s[16:17]
	v_add_u32_e32 v10, s48, v10
	v_cmp_le_i32_e32 vcc, s47, v10
	s_or_b64 s[14:15], vcc, s[14:15]
	v_add_u32_e32 v12, s48, v12
	s_andn2_b64 exec, exec, s[14:15]
	s_cbranch_execz .LBB34_22
.LBB34_6:                               ; =>This Loop Header: Depth=1
                                        ;     Child Loop BB34_8 Depth 2
                                        ;     Child Loop BB34_14 Depth 2
                                        ;       Child Loop BB34_20 Depth 3
	v_cmp_le_i32_e32 vcc, s25, v12
	s_and_saveexec_b64 s[2:3], vcc
	s_cbranch_execz .LBB34_10
; %bb.7:                                ;   in Loop: Header=BB34_6 Depth=1
	s_mov_b64 s[4:5], 0
.LBB34_8:                               ;   Parent Loop BB34_6 Depth=1
                                        ; =>  This Inner Loop Header: Depth=2
	v_subrev_u32_e32 v12, s25, v12
	v_cmp_gt_i32_e32 vcc, s25, v12
	s_or_b64 s[4:5], vcc, s[4:5]
	v_add_u32_e32 v11, 1, v11
	s_andn2_b64 exec, exec, s[4:5]
	s_cbranch_execnz .LBB34_8
; %bb.9:                                ;   in Loop: Header=BB34_6 Depth=1
	s_or_b64 exec, exec, s[4:5]
.LBB34_10:                              ;   in Loop: Header=BB34_6 Depth=1
	s_or_b64 exec, exec, s[2:3]
	v_mul_lo_u32 v3, v12, s11
	v_add_u32_e32 v3, s29, v3
	v_cmp_lt_i32_e32 vcc, -1, v3
	v_cmp_gt_i32_e64 s[2:3], s21, v3
	s_and_b64 s[2:3], vcc, s[2:3]
	s_and_saveexec_b64 s[16:17], s[2:3]
	s_cbranch_execz .LBB34_5
; %bb.11:                               ;   in Loop: Header=BB34_6 Depth=1
	s_and_saveexec_b64 s[40:41], s[0:1]
	s_cbranch_execz .LBB34_4
; %bb.12:                               ;   in Loop: Header=BB34_6 Depth=1
	v_mul_lo_u32 v4, s36, v11
	v_mul_lo_u32 v3, s38, v3
	v_mov_b32_e32 v6, s49
	s_mov_b64 s[42:43], 0
	v_ashrrev_i32_e32 v5, 31, v4
	v_lshlrev_b64 v[4:5], 3, v[4:5]
	v_mov_b32_e32 v19, v15
	v_add_co_u32_e32 v7, vcc, s37, v4
	v_addc_co_u32_e32 v6, vcc, v6, v5, vcc
	v_ashrrev_i32_e32 v4, 31, v3
	v_mul_lo_u32 v5, s28, v11
	v_lshlrev_b64 v[3:4], 3, v[3:4]
	v_mov_b32_e32 v20, v14
	v_add_co_u32_e32 v17, vcc, v7, v3
	v_addc_co_u32_e32 v18, vcc, v6, v4, vcc
	v_ashrrev_i32_e32 v6, 31, v5
	v_lshlrev_b64 v[3:4], 3, v[5:6]
	v_mul_lo_u32 v5, s30, v12
	v_mov_b32_e32 v6, s39
	v_add_co_u32_e32 v7, vcc, s31, v3
	v_addc_co_u32_e32 v8, vcc, v6, v4, vcc
	v_ashrrev_i32_e32 v6, 31, v5
	v_lshlrev_b64 v[3:4], 3, v[5:6]
	v_add_co_u32_e32 v3, vcc, v7, v3
	v_addc_co_u32_e32 v4, vcc, v8, v4, vcc
	v_add_co_u32_e32 v3, vcc, v3, v16
	v_addc_co_u32_e32 v4, vcc, 0, v4, vcc
	s_branch .LBB34_14
.LBB34_13:                              ;   in Loop: Header=BB34_14 Depth=2
	s_or_b64 exec, exec, s[2:3]
	s_waitcnt vmcnt(0)
	v_fma_f64 v[1:2], v[5:6], v[7:8], v[1:2]
	v_add_co_u32_e32 v3, vcc, 0x200, v3
	v_cmp_le_i32_e64 s[2:3], s26, v20
	s_or_b64 s[42:43], s[2:3], s[42:43]
	v_addc_co_u32_e32 v4, vcc, 0, v4, vcc
	s_andn2_b64 exec, exec, s[42:43]
	s_cbranch_execz .LBB34_3
.LBB34_14:                              ;   Parent Loop BB34_6 Depth=1
                                        ; =>  This Loop Header: Depth=2
                                        ;       Child Loop BB34_20 Depth 3
	global_load_dwordx2 v[5:6], v[3:4], off
	v_mul_lo_u32 v7, v19, s13
	v_add_u32_e32 v9, s50, v7
	v_mov_b32_e32 v7, 0
	v_mov_b32_e32 v8, 0
	v_cmp_lt_i32_e32 vcc, -1, v9
	s_and_saveexec_b64 s[44:45], vcc
	s_cbranch_execz .LBB34_18
; %bb.15:                               ;   in Loop: Header=BB34_14 Depth=2
	v_mul_lo_u32 v7, v20, s12
	v_cmp_gt_i32_e32 vcc, s23, v9
	v_add_u32_e32 v21, s51, v7
	v_cmp_gt_i32_e64 s[4:5], s22, v21
	v_cmp_lt_i32_e64 s[2:3], -1, v21
	s_and_b64 s[4:5], vcc, s[4:5]
	v_mov_b32_e32 v7, 0
	v_mov_b32_e32 v8, 0
	s_and_b64 s[4:5], s[4:5], s[2:3]
	s_and_saveexec_b64 s[2:3], s[4:5]
	s_cbranch_execz .LBB34_17
; %bb.16:                               ;   in Loop: Header=BB34_14 Depth=2
	v_mad_u64_u32 v[7:8], s[4:5], v21, s23, v[9:10]
	v_mov_b32_e32 v8, v13
	v_lshlrev_b64 v[7:8], 3, v[7:8]
	v_add_co_u32_e32 v7, vcc, v17, v7
	v_addc_co_u32_e32 v8, vcc, v18, v8, vcc
	global_load_dwordx2 v[7:8], v[7:8], off
.LBB34_17:                              ;   in Loop: Header=BB34_14 Depth=2
	s_or_b64 exec, exec, s[2:3]
.LBB34_18:                              ;   in Loop: Header=BB34_14 Depth=2
	s_or_b64 exec, exec, s[44:45]
	v_add_u32_e32 v19, 64, v19
	v_cmp_le_i32_e32 vcc, s27, v19
	s_and_saveexec_b64 s[2:3], vcc
	s_cbranch_execz .LBB34_13
; %bb.19:                               ;   in Loop: Header=BB34_14 Depth=2
	s_mov_b64 s[4:5], 0
.LBB34_20:                              ;   Parent Loop BB34_6 Depth=1
                                        ;     Parent Loop BB34_14 Depth=2
                                        ; =>    This Inner Loop Header: Depth=3
	v_subrev_u32_e32 v19, s27, v19
	v_cmp_gt_i32_e32 vcc, s27, v19
	s_or_b64 s[4:5], vcc, s[4:5]
	v_add_u32_e32 v20, 1, v20
	s_andn2_b64 exec, exec, s[4:5]
	s_cbranch_execnz .LBB34_20
; %bb.21:                               ;   in Loop: Header=BB34_14 Depth=2
	s_or_b64 exec, exec, s[4:5]
	s_branch .LBB34_13
.LBB34_22:
	s_or_b64 exec, exec, s[14:15]
.LBB34_23:
	s_or_b64 exec, exec, s[6:7]
	s_bcnt1_i32_b32 s0, s46
	v_lshl_add_u32 v3, v0, 3, 0
	s_cmp_lg_u32 s0, 1
	s_mov_b64 s[0:1], -1
	ds_write_b64 v3, v[1:2]
	s_waitcnt lgkmcnt(0)
	s_barrier
	s_cbranch_scc1 .LBB34_32
; %bb.24:
	s_andn2_b64 vcc, exec, s[0:1]
	s_cbranch_vccnz .LBB34_28
.LBB34_25:
	s_cmp_lt_u32 s46, 2
	s_cbranch_scc0 .LBB34_30
.LBB34_26:
	v_cmp_eq_u32_e32 vcc, 0, v0
	s_and_saveexec_b64 s[0:1], vcc
	s_cbranch_execz .LBB34_28
; %bb.27:
	s_mul_i32 s0, s19, s33
	s_ashr_i32 s1, s0, 31
	s_lshl_b64 s[0:1], s[0:1], 3
	s_add_u32 s2, s34, s0
	s_mul_i32 s0, s8, s24
	s_addc_u32 s3, s35, s1
	s_ashr_i32 s1, s0, 31
	s_lshl_b64 s[0:1], s[0:1], 3
	s_add_u32 s2, s2, s0
	s_mul_i32 s0, s9, s20
	s_addc_u32 s3, s3, s1
	s_ashr_i32 s1, s0, 31
	s_lshl_b64 s[0:1], s[0:1], 3
	v_mov_b32_e32 v2, 0
	s_add_u32 s2, s2, s0
	s_mul_i32 s0, s10, s18
	ds_read_b64 v[0:1], v2
	s_addc_u32 s3, s3, s1
	s_ashr_i32 s1, s0, 31
	s_lshl_b64 s[0:1], s[0:1], 3
	s_add_u32 s0, s2, s0
	s_addc_u32 s1, s3, s1
	s_waitcnt lgkmcnt(0)
	global_store_dwordx2 v2, v[0:1], s[0:1]
.LBB34_28:
	s_endpgm
.LBB34_29:                              ;   in Loop: Header=BB34_30 Depth=1
	s_or_b64 exec, exec, s[0:1]
	s_cmp_lt_u32 s46, 4
	s_mov_b32 s46, s2
	s_waitcnt lgkmcnt(0)
	s_barrier
	s_cbranch_scc1 .LBB34_26
.LBB34_30:                              ; =>This Inner Loop Header: Depth=1
	s_lshr_b32 s2, s46, 1
	v_cmp_gt_u32_e32 vcc, s2, v0
	s_and_saveexec_b64 s[0:1], vcc
	s_cbranch_execz .LBB34_29
; %bb.31:                               ;   in Loop: Header=BB34_30 Depth=1
	v_lshl_add_u32 v1, s2, 3, v3
	ds_read_b64 v[1:2], v1
	ds_read_b64 v[4:5], v3
	s_waitcnt lgkmcnt(0)
	v_add_f64 v[1:2], v[1:2], v[4:5]
	ds_write_b64 v3, v[1:2]
	s_branch .LBB34_29
.LBB34_32:
	s_trap 2
	; divergent unreachable
	s_cbranch_execz .LBB34_25
	s_branch .LBB34_28
	.section	.rodata,"a",@progbits
	.p2align	6, 0x0
	.amdhsa_kernel _ZN2at6native12_GLOBAL__N_144conv_depthwise3d_cuda_backward_weight_kernelIddLin1ELin1EEEvN5torch10headeronly6detail27GenericPackedTensorAccessorINS5_14TensorAccessorIN3c108ArrayRefIlEEKT_Lm4ENS4_16DefaultPtrTraitsEiEENS_6detail16IndexBoundsCheckILm5EiEESC_Lm5ESD_iEESI_NS6_INS7_ISA_SB_Lm4ESD_iEESH_SB_Lm5ESD_iEEiiiiiiiii
		.amdhsa_group_segment_fixed_size 0
		.amdhsa_private_segment_fixed_size 0
		.amdhsa_kernarg_size 440
		.amdhsa_user_sgpr_count 6
		.amdhsa_user_sgpr_private_segment_buffer 1
		.amdhsa_user_sgpr_dispatch_ptr 0
		.amdhsa_user_sgpr_queue_ptr 0
		.amdhsa_user_sgpr_kernarg_segment_ptr 1
		.amdhsa_user_sgpr_dispatch_id 0
		.amdhsa_user_sgpr_flat_scratch_init 0
		.amdhsa_user_sgpr_private_segment_size 0
		.amdhsa_uses_dynamic_stack 0
		.amdhsa_system_sgpr_private_segment_wavefront_offset 0
		.amdhsa_system_sgpr_workgroup_id_x 1
		.amdhsa_system_sgpr_workgroup_id_y 0
		.amdhsa_system_sgpr_workgroup_id_z 0
		.amdhsa_system_sgpr_workgroup_info 0
		.amdhsa_system_vgpr_workitem_id 0
		.amdhsa_next_free_vgpr 22
		.amdhsa_next_free_sgpr 52
		.amdhsa_reserve_vcc 1
		.amdhsa_reserve_flat_scratch 0
		.amdhsa_float_round_mode_32 0
		.amdhsa_float_round_mode_16_64 0
		.amdhsa_float_denorm_mode_32 3
		.amdhsa_float_denorm_mode_16_64 3
		.amdhsa_dx10_clamp 1
		.amdhsa_ieee_mode 1
		.amdhsa_fp16_overflow 0
		.amdhsa_exception_fp_ieee_invalid_op 0
		.amdhsa_exception_fp_denorm_src 0
		.amdhsa_exception_fp_ieee_div_zero 0
		.amdhsa_exception_fp_ieee_overflow 0
		.amdhsa_exception_fp_ieee_underflow 0
		.amdhsa_exception_fp_ieee_inexact 0
		.amdhsa_exception_int_div_zero 0
	.end_amdhsa_kernel
	.section	.text._ZN2at6native12_GLOBAL__N_144conv_depthwise3d_cuda_backward_weight_kernelIddLin1ELin1EEEvN5torch10headeronly6detail27GenericPackedTensorAccessorINS5_14TensorAccessorIN3c108ArrayRefIlEEKT_Lm4ENS4_16DefaultPtrTraitsEiEENS_6detail16IndexBoundsCheckILm5EiEESC_Lm5ESD_iEESI_NS6_INS7_ISA_SB_Lm4ESD_iEESH_SB_Lm5ESD_iEEiiiiiiiii,"axG",@progbits,_ZN2at6native12_GLOBAL__N_144conv_depthwise3d_cuda_backward_weight_kernelIddLin1ELin1EEEvN5torch10headeronly6detail27GenericPackedTensorAccessorINS5_14TensorAccessorIN3c108ArrayRefIlEEKT_Lm4ENS4_16DefaultPtrTraitsEiEENS_6detail16IndexBoundsCheckILm5EiEESC_Lm5ESD_iEESI_NS6_INS7_ISA_SB_Lm4ESD_iEESH_SB_Lm5ESD_iEEiiiiiiiii,comdat
.Lfunc_end34:
	.size	_ZN2at6native12_GLOBAL__N_144conv_depthwise3d_cuda_backward_weight_kernelIddLin1ELin1EEEvN5torch10headeronly6detail27GenericPackedTensorAccessorINS5_14TensorAccessorIN3c108ArrayRefIlEEKT_Lm4ENS4_16DefaultPtrTraitsEiEENS_6detail16IndexBoundsCheckILm5EiEESC_Lm5ESD_iEESI_NS6_INS7_ISA_SB_Lm4ESD_iEESH_SB_Lm5ESD_iEEiiiiiiiii, .Lfunc_end34-_ZN2at6native12_GLOBAL__N_144conv_depthwise3d_cuda_backward_weight_kernelIddLin1ELin1EEEvN5torch10headeronly6detail27GenericPackedTensorAccessorINS5_14TensorAccessorIN3c108ArrayRefIlEEKT_Lm4ENS4_16DefaultPtrTraitsEiEENS_6detail16IndexBoundsCheckILm5EiEESC_Lm5ESD_iEESI_NS6_INS7_ISA_SB_Lm4ESD_iEESH_SB_Lm5ESD_iEEiiiiiiiii
                                        ; -- End function
	.set _ZN2at6native12_GLOBAL__N_144conv_depthwise3d_cuda_backward_weight_kernelIddLin1ELin1EEEvN5torch10headeronly6detail27GenericPackedTensorAccessorINS5_14TensorAccessorIN3c108ArrayRefIlEEKT_Lm4ENS4_16DefaultPtrTraitsEiEENS_6detail16IndexBoundsCheckILm5EiEESC_Lm5ESD_iEESI_NS6_INS7_ISA_SB_Lm4ESD_iEESH_SB_Lm5ESD_iEEiiiiiiiii.num_vgpr, 22
	.set _ZN2at6native12_GLOBAL__N_144conv_depthwise3d_cuda_backward_weight_kernelIddLin1ELin1EEEvN5torch10headeronly6detail27GenericPackedTensorAccessorINS5_14TensorAccessorIN3c108ArrayRefIlEEKT_Lm4ENS4_16DefaultPtrTraitsEiEENS_6detail16IndexBoundsCheckILm5EiEESC_Lm5ESD_iEESI_NS6_INS7_ISA_SB_Lm4ESD_iEESH_SB_Lm5ESD_iEEiiiiiiiii.num_agpr, 0
	.set _ZN2at6native12_GLOBAL__N_144conv_depthwise3d_cuda_backward_weight_kernelIddLin1ELin1EEEvN5torch10headeronly6detail27GenericPackedTensorAccessorINS5_14TensorAccessorIN3c108ArrayRefIlEEKT_Lm4ENS4_16DefaultPtrTraitsEiEENS_6detail16IndexBoundsCheckILm5EiEESC_Lm5ESD_iEESI_NS6_INS7_ISA_SB_Lm4ESD_iEESH_SB_Lm5ESD_iEEiiiiiiiii.numbered_sgpr, 52
	.set _ZN2at6native12_GLOBAL__N_144conv_depthwise3d_cuda_backward_weight_kernelIddLin1ELin1EEEvN5torch10headeronly6detail27GenericPackedTensorAccessorINS5_14TensorAccessorIN3c108ArrayRefIlEEKT_Lm4ENS4_16DefaultPtrTraitsEiEENS_6detail16IndexBoundsCheckILm5EiEESC_Lm5ESD_iEESI_NS6_INS7_ISA_SB_Lm4ESD_iEESH_SB_Lm5ESD_iEEiiiiiiiii.num_named_barrier, 0
	.set _ZN2at6native12_GLOBAL__N_144conv_depthwise3d_cuda_backward_weight_kernelIddLin1ELin1EEEvN5torch10headeronly6detail27GenericPackedTensorAccessorINS5_14TensorAccessorIN3c108ArrayRefIlEEKT_Lm4ENS4_16DefaultPtrTraitsEiEENS_6detail16IndexBoundsCheckILm5EiEESC_Lm5ESD_iEESI_NS6_INS7_ISA_SB_Lm4ESD_iEESH_SB_Lm5ESD_iEEiiiiiiiii.private_seg_size, 0
	.set _ZN2at6native12_GLOBAL__N_144conv_depthwise3d_cuda_backward_weight_kernelIddLin1ELin1EEEvN5torch10headeronly6detail27GenericPackedTensorAccessorINS5_14TensorAccessorIN3c108ArrayRefIlEEKT_Lm4ENS4_16DefaultPtrTraitsEiEENS_6detail16IndexBoundsCheckILm5EiEESC_Lm5ESD_iEESI_NS6_INS7_ISA_SB_Lm4ESD_iEESH_SB_Lm5ESD_iEEiiiiiiiii.uses_vcc, 1
	.set _ZN2at6native12_GLOBAL__N_144conv_depthwise3d_cuda_backward_weight_kernelIddLin1ELin1EEEvN5torch10headeronly6detail27GenericPackedTensorAccessorINS5_14TensorAccessorIN3c108ArrayRefIlEEKT_Lm4ENS4_16DefaultPtrTraitsEiEENS_6detail16IndexBoundsCheckILm5EiEESC_Lm5ESD_iEESI_NS6_INS7_ISA_SB_Lm4ESD_iEESH_SB_Lm5ESD_iEEiiiiiiiii.uses_flat_scratch, 0
	.set _ZN2at6native12_GLOBAL__N_144conv_depthwise3d_cuda_backward_weight_kernelIddLin1ELin1EEEvN5torch10headeronly6detail27GenericPackedTensorAccessorINS5_14TensorAccessorIN3c108ArrayRefIlEEKT_Lm4ENS4_16DefaultPtrTraitsEiEENS_6detail16IndexBoundsCheckILm5EiEESC_Lm5ESD_iEESI_NS6_INS7_ISA_SB_Lm4ESD_iEESH_SB_Lm5ESD_iEEiiiiiiiii.has_dyn_sized_stack, 0
	.set _ZN2at6native12_GLOBAL__N_144conv_depthwise3d_cuda_backward_weight_kernelIddLin1ELin1EEEvN5torch10headeronly6detail27GenericPackedTensorAccessorINS5_14TensorAccessorIN3c108ArrayRefIlEEKT_Lm4ENS4_16DefaultPtrTraitsEiEENS_6detail16IndexBoundsCheckILm5EiEESC_Lm5ESD_iEESI_NS6_INS7_ISA_SB_Lm4ESD_iEESH_SB_Lm5ESD_iEEiiiiiiiii.has_recursion, 0
	.set _ZN2at6native12_GLOBAL__N_144conv_depthwise3d_cuda_backward_weight_kernelIddLin1ELin1EEEvN5torch10headeronly6detail27GenericPackedTensorAccessorINS5_14TensorAccessorIN3c108ArrayRefIlEEKT_Lm4ENS4_16DefaultPtrTraitsEiEENS_6detail16IndexBoundsCheckILm5EiEESC_Lm5ESD_iEESI_NS6_INS7_ISA_SB_Lm4ESD_iEESH_SB_Lm5ESD_iEEiiiiiiiii.has_indirect_call, 0
	.section	.AMDGPU.csdata,"",@progbits
; Kernel info:
; codeLenInByte = 1824
; TotalNumSgprs: 56
; NumVgprs: 22
; ScratchSize: 0
; MemoryBound: 0
; FloatMode: 240
; IeeeMode: 1
; LDSByteSize: 0 bytes/workgroup (compile time only)
; SGPRBlocks: 6
; VGPRBlocks: 5
; NumSGPRsForWavesPerEU: 56
; NumVGPRsForWavesPerEU: 22
; Occupancy: 10
; WaveLimiterHint : 1
; COMPUTE_PGM_RSRC2:SCRATCH_EN: 0
; COMPUTE_PGM_RSRC2:USER_SGPR: 6
; COMPUTE_PGM_RSRC2:TRAP_HANDLER: 0
; COMPUTE_PGM_RSRC2:TGID_X_EN: 1
; COMPUTE_PGM_RSRC2:TGID_Y_EN: 0
; COMPUTE_PGM_RSRC2:TGID_Z_EN: 0
; COMPUTE_PGM_RSRC2:TIDIG_COMP_CNT: 0
	.section	.text._ZN2at6native12_GLOBAL__N_144conv_depthwise3d_cuda_backward_weight_kernelIffLi1ELi1EEEvN5torch10headeronly6detail27GenericPackedTensorAccessorINS5_14TensorAccessorIN3c108ArrayRefIlEEKT_Lm4ENS4_16DefaultPtrTraitsEiEENS_6detail16IndexBoundsCheckILm5EiEESC_Lm5ESD_iEESI_NS6_INS7_ISA_SB_Lm4ESD_iEESH_SB_Lm5ESD_iEEiiiiiiiii,"axG",@progbits,_ZN2at6native12_GLOBAL__N_144conv_depthwise3d_cuda_backward_weight_kernelIffLi1ELi1EEEvN5torch10headeronly6detail27GenericPackedTensorAccessorINS5_14TensorAccessorIN3c108ArrayRefIlEEKT_Lm4ENS4_16DefaultPtrTraitsEiEENS_6detail16IndexBoundsCheckILm5EiEESC_Lm5ESD_iEESI_NS6_INS7_ISA_SB_Lm4ESD_iEESH_SB_Lm5ESD_iEEiiiiiiiii,comdat
	.globl	_ZN2at6native12_GLOBAL__N_144conv_depthwise3d_cuda_backward_weight_kernelIffLi1ELi1EEEvN5torch10headeronly6detail27GenericPackedTensorAccessorINS5_14TensorAccessorIN3c108ArrayRefIlEEKT_Lm4ENS4_16DefaultPtrTraitsEiEENS_6detail16IndexBoundsCheckILm5EiEESC_Lm5ESD_iEESI_NS6_INS7_ISA_SB_Lm4ESD_iEESH_SB_Lm5ESD_iEEiiiiiiiii ; -- Begin function _ZN2at6native12_GLOBAL__N_144conv_depthwise3d_cuda_backward_weight_kernelIffLi1ELi1EEEvN5torch10headeronly6detail27GenericPackedTensorAccessorINS5_14TensorAccessorIN3c108ArrayRefIlEEKT_Lm4ENS4_16DefaultPtrTraitsEiEENS_6detail16IndexBoundsCheckILm5EiEESC_Lm5ESD_iEESI_NS6_INS7_ISA_SB_Lm4ESD_iEESH_SB_Lm5ESD_iEEiiiiiiiii
	.p2align	8
	.type	_ZN2at6native12_GLOBAL__N_144conv_depthwise3d_cuda_backward_weight_kernelIffLi1ELi1EEEvN5torch10headeronly6detail27GenericPackedTensorAccessorINS5_14TensorAccessorIN3c108ArrayRefIlEEKT_Lm4ENS4_16DefaultPtrTraitsEiEENS_6detail16IndexBoundsCheckILm5EiEESC_Lm5ESD_iEESI_NS6_INS7_ISA_SB_Lm4ESD_iEESH_SB_Lm5ESD_iEEiiiiiiiii,@function
_ZN2at6native12_GLOBAL__N_144conv_depthwise3d_cuda_backward_weight_kernelIffLi1ELi1EEEvN5torch10headeronly6detail27GenericPackedTensorAccessorINS5_14TensorAccessorIN3c108ArrayRefIlEEKT_Lm4ENS4_16DefaultPtrTraitsEiEENS_6detail16IndexBoundsCheckILm5EiEESC_Lm5ESD_iEESI_NS6_INS7_ISA_SB_Lm4ESD_iEESH_SB_Lm5ESD_iEEiiiiiiiii: ; @_ZN2at6native12_GLOBAL__N_144conv_depthwise3d_cuda_backward_weight_kernelIffLi1ELi1EEEvN5torch10headeronly6detail27GenericPackedTensorAccessorINS5_14TensorAccessorIN3c108ArrayRefIlEEKT_Lm4ENS4_16DefaultPtrTraitsEiEENS_6detail16IndexBoundsCheckILm5EiEESC_Lm5ESD_iEESI_NS6_INS7_ISA_SB_Lm4ESD_iEESH_SB_Lm5ESD_iEEiiiiiiiii
; %bb.0:
	s_load_dwordx4 s[8:11], s[4:5], 0x70
	s_add_u32 s0, s4, 0x60
	s_addc_u32 s1, s5, 0
	s_load_dwordx4 s[16:19], s[4:5], 0x3c
	s_load_dwordx4 s[20:23], s[4:5], 0xc
	s_waitcnt lgkmcnt(0)
	v_cvt_f32_u32_e32 v1, s10
	v_cvt_f32_u32_e32 v2, s9
	s_sub_i32 s2, 0, s10
	v_rcp_iflag_f32_e32 v1, v1
	v_rcp_iflag_f32_e32 v2, v2
	v_mul_f32_e32 v1, 0x4f7ffffe, v1
	v_cvt_u32_f32_e32 v1, v1
	v_mul_f32_e32 v2, 0x4f7ffffe, v2
	v_cvt_u32_f32_e32 v2, v2
	v_readfirstlane_b32 s3, v1
	s_mul_i32 s2, s2, s3
	s_mul_hi_u32 s2, s3, s2
	s_add_i32 s3, s3, s2
	s_mul_hi_u32 s2, s6, s3
	s_mul_i32 s3, s2, s10
	s_sub_i32 s3, s6, s3
	s_add_i32 s12, s2, 1
	s_sub_i32 s13, s3, s10
	s_cmp_ge_u32 s3, s10
	s_cselect_b32 s2, s12, s2
	s_cselect_b32 s3, s13, s3
	s_add_i32 s12, s2, 1
	s_cmp_ge_u32 s3, s10
	v_cvt_f32_u32_e32 v1, s8
	v_readfirstlane_b32 s7, v2
	s_cselect_b32 s2, s12, s2
	s_sub_i32 s3, 0, s9
	s_mul_i32 s3, s3, s7
	s_mul_hi_u32 s3, s7, s3
	s_add_i32 s7, s7, s3
	v_rcp_iflag_f32_e32 v1, v1
	s_mul_hi_u32 s3, s2, s7
	s_mul_i32 s7, s3, s9
	s_sub_i32 s7, s2, s7
	s_add_i32 s12, s3, 1
	s_sub_i32 s13, s7, s9
	v_mul_f32_e32 v1, 0x4f7ffffe, v1
	s_cmp_ge_u32 s7, s9
	v_cvt_u32_f32_e32 v1, v1
	s_cselect_b32 s3, s12, s3
	s_cselect_b32 s7, s13, s7
	s_add_i32 s12, s3, 1
	s_cmp_ge_u32 s7, s9
	s_cselect_b32 s3, s12, s3
	s_sub_i32 s7, 0, s8
	v_readfirstlane_b32 s12, v1
	s_mul_i32 s7, s7, s12
	s_mul_hi_u32 s7, s12, s7
	s_add_i32 s12, s12, s7
	s_mul_hi_u32 s7, s3, s12
	s_mul_i32 s12, s7, s8
	s_sub_i32 s12, s3, s12
	s_add_i32 s13, s7, 1
	s_sub_i32 s14, s12, s8
	s_cmp_ge_u32 s12, s8
	s_cselect_b32 s7, s13, s7
	s_cselect_b32 s12, s14, s12
	s_add_i32 s13, s7, 1
	s_cmp_ge_u32 s12, s8
	s_cselect_b32 s33, s13, s7
	s_abs_i32 s7, s16
	v_cvt_f32_u32_e32 v1, s7
	s_sub_i32 s14, 0, s7
	s_abs_i32 s13, s20
	s_xor_b32 s12, s20, s16
	v_rcp_iflag_f32_e32 v1, v1
	s_ashr_i32 s12, s12, 31
	v_mul_f32_e32 v1, 0x4f7ffffe, v1
	v_cvt_u32_f32_e32 v1, v1
	v_readfirstlane_b32 s15, v1
	s_mul_i32 s14, s14, s15
	s_mul_hi_u32 s14, s15, s14
	s_add_i32 s15, s15, s14
	s_mul_hi_u32 s14, s13, s15
	s_mul_i32 s15, s14, s7
	s_sub_i32 s13, s13, s15
	s_add_i32 s15, s14, 1
	s_sub_i32 s16, s13, s7
	s_cmp_ge_u32 s13, s7
	s_cselect_b32 s14, s15, s14
	s_cselect_b32 s13, s16, s13
	s_add_i32 s15, s14, 1
	s_cmp_ge_u32 s13, s7
	s_cselect_b32 s7, s15, s14
	s_xor_b32 s7, s7, s12
	s_sub_i32 s25, s7, s12
	s_abs_i32 s24, s25
	v_cvt_f32_u32_e32 v1, s24
	s_load_dword s7, s[4:5], 0x68
	v_rcp_iflag_f32_e32 v1, v1
	s_waitcnt lgkmcnt(0)
	s_cmp_ge_i32 s33, s7
	v_mul_f32_e32 v1, 0x4f7ffffe, v1
	v_cvt_u32_f32_e32 v1, v1
	v_readfirstlane_b32 s26, v1
	s_cbranch_scc1 .LBB35_28
; %bb.1:
	s_load_dwordx2 s[34:35], s[0:1], 0x0
	s_load_dwordx4 s[12:15], s[0:1], 0x24
	s_mul_i32 s0, s2, s10
	s_sub_i32 s10, s6, s0
	s_mul_i32 s0, s3, s9
	s_sub_i32 s16, s2, s0
	s_load_dword s0, s[4:5], 0xc4
	s_load_dword s45, s[4:5], 0x38
	s_mul_i32 s1, s33, s8
	v_lshrrev_b32_e32 v4, 6, v0
	s_sub_i32 s20, s3, s1
	s_waitcnt lgkmcnt(0)
	s_and_b32 s44, s0, 0xffff
	s_mul_i32 s45, s45, s21
	v_cmp_gt_i32_e32 vcc, s45, v4
	v_mov_b32_e32 v8, 0
	s_and_saveexec_b64 s[6:7], vcc
	s_cbranch_execz .LBB35_23
; %bb.2:
	s_sub_i32 s3, 0, s24
	s_mul_i32 s3, s3, s26
	s_mul_hi_u32 s3, s26, s3
	s_abs_i32 s2, s33
	s_add_i32 s26, s26, s3
	s_ashr_i32 s0, s33, 31
	s_ashr_i32 s1, s25, 31
	s_mul_hi_u32 s3, s2, s26
	s_xor_b32 s28, s0, s1
	s_mul_i32 s0, s3, s24
	s_sub_i32 s0, s2, s0
	s_lshr_b32 s46, s44, 6
	s_add_i32 s1, s3, 1
	s_sub_i32 s2, s0, s24
	s_cmp_ge_u32 s0, s24
	s_cselect_b32 s1, s1, s3
	s_cselect_b32 s0, s2, s0
	s_add_i32 s2, s1, 1
	s_cmp_ge_u32 s0, s24
	s_cselect_b32 s29, s2, s1
	s_abs_i32 s42, s21
	v_cvt_f32_u32_e32 v1, s42
	s_sub_i32 s0, 0, s42
	s_ashr_i32 s43, s21, 31
	v_and_b32_e32 v8, 63, v0
	v_rcp_iflag_f32_e32 v1, v1
	v_mov_b32_e32 v7, 0
	v_lshlrev_b32_e32 v11, 2, v8
	v_mul_f32_e32 v1, 0x4f7ffffe, v1
	v_cvt_u32_f32_e32 v1, v1
	v_mul_lo_u32 v2, s0, v1
	s_load_dwordx4 s[0:3], s[4:5], 0x9c
	s_load_dwordx2 s[8:9], s[4:5], 0xac
	s_load_dwordx2 s[36:37], s[4:5], 0x0
	s_load_dwordx4 s[24:27], s[4:5], 0x1c
	v_mul_hi_u32 v2, v1, v2
	s_waitcnt lgkmcnt(0)
	s_mul_i32 s3, s20, s3
	s_sub_i32 s27, s3, s0
	s_xor_b32 s0, s29, s28
	s_sub_i32 s0, s0, s28
	s_load_dwordx2 s[40:41], s[4:5], 0x30
	s_load_dwordx4 s[28:31], s[4:5], 0x4c
	s_mul_i32 s38, s25, s33
	s_ashr_i32 s39, s38, 31
	s_lshl_b64 s[4:5], s[38:39], 2
	s_add_u32 s25, s36, s4
	s_waitcnt lgkmcnt(0)
	s_mul_i32 s4, s29, s0
	s_addc_u32 s31, s37, s5
	s_ashr_i32 s5, s4, 31
	s_lshl_b64 s[4:5], s[4:5], 2
	s_add_u32 s29, s40, s4
	s_addc_u32 s47, s41, s5
	s_abs_i32 s0, s23
	v_cvt_f32_u32_e32 v3, s0
	v_add_u32_e32 v1, v1, v2
	v_mul_hi_u32 v1, v4, v1
	s_sub_i32 s3, 0, s0
	v_rcp_iflag_f32_e32 v3, v3
	v_mul_lo_u32 v2, v1, s42
	v_add_u32_e32 v5, 1, v1
	v_mul_f32_e32 v3, 0x4f7ffffe, v3
	v_cvt_u32_f32_e32 v3, v3
	v_sub_u32_e32 v2, v4, v2
	v_cmp_le_u32_e32 vcc, s42, v2
	v_cndmask_b32_e32 v1, v1, v5, vcc
	v_subrev_u32_e32 v5, s42, v2
	v_cndmask_b32_e32 v2, v2, v5, vcc
	v_mul_lo_u32 v5, s3, v3
	v_cmp_le_u32_e32 vcc, s42, v2
	v_add_u32_e32 v6, 1, v1
	v_cndmask_b32_e32 v1, v1, v6, vcc
	v_mul_hi_u32 v2, v3, v5
	v_xor_b32_e32 v1, s43, v1
	v_subrev_u32_e32 v5, s43, v1
	v_mul_lo_u32 v1, v5, s21
	v_add_u32_e32 v2, v3, v2
	v_mul_hi_u32 v2, v8, v2
	s_mul_i32 s3, s10, s9
	v_sub_u32_e32 v6, v4, v1
	s_sub_i32 s48, s3, s2
	v_mul_lo_u32 v1, v2, s0
	v_add_u32_e32 v3, 1, v2
	s_ashr_i32 s2, s23, 31
	v_sub_u32_e32 v1, v8, v1
	v_cmp_le_u32_e32 vcc, s0, v1
	v_cndmask_b32_e32 v2, v2, v3, vcc
	v_subrev_u32_e32 v3, s0, v1
	v_cndmask_b32_e32 v1, v1, v3, vcc
	v_add_u32_e32 v3, 1, v2
	v_cmp_le_u32_e32 vcc, s0, v1
	v_cndmask_b32_e32 v1, v2, v3, vcc
	v_xor_b32_e32 v1, s2, v1
	v_subrev_u32_e32 v9, s2, v1
	v_mul_lo_u32 v1, v9, s23
	s_mul_i32 s0, s16, s8
	s_sub_i32 s49, s0, s1
	v_cmp_gt_i32_e64 s[0:1], s22, v9
	v_sub_u32_e32 v10, v8, v1
	s_mov_b64 s[8:9], 0
	v_mov_b32_e32 v8, 0
	s_branch .LBB35_6
.LBB35_3:                               ;   in Loop: Header=BB35_6 Depth=1
	s_or_b64 exec, exec, s[40:41]
.LBB35_4:                               ;   in Loop: Header=BB35_6 Depth=1
	s_or_b64 exec, exec, s[38:39]
.LBB35_5:                               ;   in Loop: Header=BB35_6 Depth=1
	s_or_b64 exec, exec, s[36:37]
	v_add_u32_e32 v4, s46, v4
	v_cmp_le_i32_e32 vcc, s45, v4
	s_or_b64 s[8:9], vcc, s[8:9]
	v_add_u32_e32 v6, s46, v6
	s_andn2_b64 exec, exec, s[8:9]
	s_cbranch_execz .LBB35_22
.LBB35_6:                               ; =>This Loop Header: Depth=1
                                        ;     Child Loop BB35_8 Depth 2
                                        ;     Child Loop BB35_14 Depth 2
                                        ;       Child Loop BB35_20 Depth 3
	v_cmp_le_i32_e32 vcc, s21, v6
	s_and_saveexec_b64 s[2:3], vcc
	s_cbranch_execz .LBB35_10
; %bb.7:                                ;   in Loop: Header=BB35_6 Depth=1
	s_mov_b64 s[4:5], 0
.LBB35_8:                               ;   Parent Loop BB35_6 Depth=1
                                        ; =>  This Inner Loop Header: Depth=2
	v_subrev_u32_e32 v6, s21, v6
	v_cmp_gt_i32_e32 vcc, s21, v6
	s_or_b64 s[4:5], vcc, s[4:5]
	v_add_u32_e32 v5, 1, v5
	s_andn2_b64 exec, exec, s[4:5]
	s_cbranch_execnz .LBB35_8
; %bb.9:                                ;   in Loop: Header=BB35_6 Depth=1
	s_or_b64 exec, exec, s[4:5]
.LBB35_10:                              ;   in Loop: Header=BB35_6 Depth=1
	s_or_b64 exec, exec, s[2:3]
	v_mul_lo_u32 v1, v6, s15
	v_add_u32_e32 v1, s27, v1
	v_cmp_lt_i32_e32 vcc, -1, v1
	v_cmp_gt_i32_e64 s[2:3], s17, v1
	s_and_b64 s[2:3], vcc, s[2:3]
	s_and_saveexec_b64 s[36:37], s[2:3]
	s_cbranch_execz .LBB35_5
; %bb.11:                               ;   in Loop: Header=BB35_6 Depth=1
	s_and_saveexec_b64 s[38:39], s[0:1]
	s_cbranch_execz .LBB35_4
; %bb.12:                               ;   in Loop: Header=BB35_6 Depth=1
	v_mul_lo_u32 v2, s28, v5
	v_mul_lo_u32 v1, s30, v1
	;; [unrolled: 1-line block ×3, first 2 shown]
	v_mov_b32_e32 v12, s47
	v_ashrrev_i32_e32 v3, 31, v2
	v_lshlrev_b64 v[2:3], 2, v[2:3]
	v_ashrrev_i32_e32 v15, 31, v14
	v_add_co_u32_e32 v13, vcc, s29, v2
	v_ashrrev_i32_e32 v2, 31, v1
	v_lshlrev_b64 v[1:2], 2, v[1:2]
	v_addc_co_u32_e32 v3, vcc, v12, v3, vcc
	v_add_co_u32_e32 v12, vcc, v13, v1
	v_addc_co_u32_e32 v13, vcc, v3, v2, vcc
	v_lshlrev_b64 v[1:2], 2, v[14:15]
	v_mul_lo_u32 v14, s26, v6
	v_mov_b32_e32 v3, s31
	v_add_co_u32_e32 v16, vcc, s25, v1
	v_ashrrev_i32_e32 v15, 31, v14
	v_addc_co_u32_e32 v3, vcc, v3, v2, vcc
	v_lshlrev_b64 v[1:2], 2, v[14:15]
	s_mov_b64 s[40:41], 0
	v_add_co_u32_e32 v1, vcc, v16, v1
	v_addc_co_u32_e32 v2, vcc, v3, v2, vcc
	v_add_co_u32_e32 v1, vcc, v1, v11
	v_addc_co_u32_e32 v2, vcc, 0, v2, vcc
	v_mov_b32_e32 v14, v10
	v_mov_b32_e32 v15, v9
	s_branch .LBB35_14
.LBB35_13:                              ;   in Loop: Header=BB35_14 Depth=2
	s_or_b64 exec, exec, s[2:3]
	v_add_co_u32_e32 v1, vcc, 0x100, v1
	v_addc_co_u32_e32 v2, vcc, 0, v2, vcc
	v_cmp_le_i32_e32 vcc, s22, v15
	s_or_b64 s[40:41], vcc, s[40:41]
	s_waitcnt vmcnt(0)
	v_fmac_f32_e32 v8, v16, v17
	s_andn2_b64 exec, exec, s[40:41]
	s_cbranch_execz .LBB35_3
.LBB35_14:                              ;   Parent Loop BB35_6 Depth=1
                                        ; =>  This Loop Header: Depth=2
                                        ;       Child Loop BB35_20 Depth 3
	global_load_dword v16, v[1:2], off
	v_add_u32_e32 v3, s48, v14
	v_cmp_lt_i32_e32 vcc, -1, v3
	v_mov_b32_e32 v17, 0
	s_and_saveexec_b64 s[42:43], vcc
	s_cbranch_execz .LBB35_18
; %bb.15:                               ;   in Loop: Header=BB35_14 Depth=2
	v_add_u32_e32 v18, s49, v15
	v_cmp_gt_i32_e32 vcc, s19, v3
	v_cmp_gt_i32_e64 s[4:5], s18, v18
	v_cmp_lt_i32_e64 s[2:3], -1, v18
	s_and_b64 s[4:5], vcc, s[4:5]
	s_and_b64 s[4:5], s[4:5], s[2:3]
	v_mov_b32_e32 v17, 0
	s_and_saveexec_b64 s[2:3], s[4:5]
	s_cbranch_execz .LBB35_17
; %bb.16:                               ;   in Loop: Header=BB35_14 Depth=2
	v_mad_u64_u32 v[17:18], s[4:5], v18, s19, v[3:4]
	v_mov_b32_e32 v18, v7
	v_lshlrev_b64 v[17:18], 2, v[17:18]
	v_add_co_u32_e32 v17, vcc, v12, v17
	v_addc_co_u32_e32 v18, vcc, v13, v18, vcc
	global_load_dword v17, v[17:18], off
.LBB35_17:                              ;   in Loop: Header=BB35_14 Depth=2
	s_or_b64 exec, exec, s[2:3]
.LBB35_18:                              ;   in Loop: Header=BB35_14 Depth=2
	s_or_b64 exec, exec, s[42:43]
	v_add_u32_e32 v14, 64, v14
	v_cmp_le_i32_e32 vcc, s23, v14
	s_and_saveexec_b64 s[2:3], vcc
	s_cbranch_execz .LBB35_13
; %bb.19:                               ;   in Loop: Header=BB35_14 Depth=2
	s_mov_b64 s[4:5], 0
.LBB35_20:                              ;   Parent Loop BB35_6 Depth=1
                                        ;     Parent Loop BB35_14 Depth=2
                                        ; =>    This Inner Loop Header: Depth=3
	v_subrev_u32_e32 v14, s23, v14
	v_cmp_gt_i32_e32 vcc, s23, v14
	s_or_b64 s[4:5], vcc, s[4:5]
	v_add_u32_e32 v15, 1, v15
	s_andn2_b64 exec, exec, s[4:5]
	s_cbranch_execnz .LBB35_20
; %bb.21:                               ;   in Loop: Header=BB35_14 Depth=2
	s_or_b64 exec, exec, s[4:5]
	s_branch .LBB35_13
.LBB35_22:
	s_or_b64 exec, exec, s[8:9]
.LBB35_23:
	s_or_b64 exec, exec, s[6:7]
	s_bcnt1_i32_b32 s0, s44
	v_lshl_add_u32 v1, v0, 2, 0
	s_cmp_lg_u32 s0, 1
	s_mov_b64 s[0:1], -1
	ds_write_b32 v1, v8
	s_waitcnt lgkmcnt(0)
	s_barrier
	s_cbranch_scc1 .LBB35_32
; %bb.24:
	s_andn2_b64 vcc, exec, s[0:1]
	s_cbranch_vccnz .LBB35_28
.LBB35_25:
	s_cmp_lt_u32 s44, 2
	s_cbranch_scc0 .LBB35_30
.LBB35_26:
	v_cmp_eq_u32_e32 vcc, 0, v0
	s_and_saveexec_b64 s[0:1], vcc
	s_cbranch_execz .LBB35_28
; %bb.27:
	s_mul_i32 s0, s11, s33
	s_ashr_i32 s1, s0, 31
	s_lshl_b64 s[0:1], s[0:1], 2
	s_add_u32 s2, s34, s0
	s_mul_i32 s0, s12, s20
	s_addc_u32 s3, s35, s1
	s_ashr_i32 s1, s0, 31
	s_lshl_b64 s[0:1], s[0:1], 2
	s_add_u32 s2, s2, s0
	s_mul_i32 s0, s13, s16
	s_addc_u32 s3, s3, s1
	s_ashr_i32 s1, s0, 31
	s_lshl_b64 s[0:1], s[0:1], 2
	v_mov_b32_e32 v0, 0
	s_add_u32 s2, s2, s0
	s_mul_i32 s0, s14, s10
	ds_read_b32 v1, v0
	s_addc_u32 s3, s3, s1
	s_ashr_i32 s1, s0, 31
	s_lshl_b64 s[0:1], s[0:1], 2
	s_add_u32 s0, s2, s0
	s_addc_u32 s1, s3, s1
	s_waitcnt lgkmcnt(0)
	global_store_dword v0, v1, s[0:1]
.LBB35_28:
	s_endpgm
.LBB35_29:                              ;   in Loop: Header=BB35_30 Depth=1
	s_or_b64 exec, exec, s[0:1]
	s_cmp_lt_u32 s44, 4
	s_mov_b32 s44, s2
	s_waitcnt lgkmcnt(0)
	s_barrier
	s_cbranch_scc1 .LBB35_26
.LBB35_30:                              ; =>This Inner Loop Header: Depth=1
	s_lshr_b32 s2, s44, 1
	v_cmp_gt_u32_e32 vcc, s2, v0
	s_and_saveexec_b64 s[0:1], vcc
	s_cbranch_execz .LBB35_29
; %bb.31:                               ;   in Loop: Header=BB35_30 Depth=1
	v_lshl_add_u32 v2, s2, 2, v1
	ds_read_b32 v2, v2
	ds_read_b32 v3, v1
	s_waitcnt lgkmcnt(0)
	v_add_f32_e32 v2, v2, v3
	ds_write_b32 v1, v2
	s_branch .LBB35_29
.LBB35_32:
	s_trap 2
	; divergent unreachable
	s_cbranch_execz .LBB35_25
	s_branch .LBB35_28
	.section	.rodata,"a",@progbits
	.p2align	6, 0x0
	.amdhsa_kernel _ZN2at6native12_GLOBAL__N_144conv_depthwise3d_cuda_backward_weight_kernelIffLi1ELi1EEEvN5torch10headeronly6detail27GenericPackedTensorAccessorINS5_14TensorAccessorIN3c108ArrayRefIlEEKT_Lm4ENS4_16DefaultPtrTraitsEiEENS_6detail16IndexBoundsCheckILm5EiEESC_Lm5ESD_iEESI_NS6_INS7_ISA_SB_Lm4ESD_iEESH_SB_Lm5ESD_iEEiiiiiiiii
		.amdhsa_group_segment_fixed_size 0
		.amdhsa_private_segment_fixed_size 0
		.amdhsa_kernarg_size 440
		.amdhsa_user_sgpr_count 6
		.amdhsa_user_sgpr_private_segment_buffer 1
		.amdhsa_user_sgpr_dispatch_ptr 0
		.amdhsa_user_sgpr_queue_ptr 0
		.amdhsa_user_sgpr_kernarg_segment_ptr 1
		.amdhsa_user_sgpr_dispatch_id 0
		.amdhsa_user_sgpr_flat_scratch_init 0
		.amdhsa_user_sgpr_private_segment_size 0
		.amdhsa_uses_dynamic_stack 0
		.amdhsa_system_sgpr_private_segment_wavefront_offset 0
		.amdhsa_system_sgpr_workgroup_id_x 1
		.amdhsa_system_sgpr_workgroup_id_y 0
		.amdhsa_system_sgpr_workgroup_id_z 0
		.amdhsa_system_sgpr_workgroup_info 0
		.amdhsa_system_vgpr_workitem_id 0
		.amdhsa_next_free_vgpr 19
		.amdhsa_next_free_sgpr 50
		.amdhsa_reserve_vcc 1
		.amdhsa_reserve_flat_scratch 0
		.amdhsa_float_round_mode_32 0
		.amdhsa_float_round_mode_16_64 0
		.amdhsa_float_denorm_mode_32 3
		.amdhsa_float_denorm_mode_16_64 3
		.amdhsa_dx10_clamp 1
		.amdhsa_ieee_mode 1
		.amdhsa_fp16_overflow 0
		.amdhsa_exception_fp_ieee_invalid_op 0
		.amdhsa_exception_fp_denorm_src 0
		.amdhsa_exception_fp_ieee_div_zero 0
		.amdhsa_exception_fp_ieee_overflow 0
		.amdhsa_exception_fp_ieee_underflow 0
		.amdhsa_exception_fp_ieee_inexact 0
		.amdhsa_exception_int_div_zero 0
	.end_amdhsa_kernel
	.section	.text._ZN2at6native12_GLOBAL__N_144conv_depthwise3d_cuda_backward_weight_kernelIffLi1ELi1EEEvN5torch10headeronly6detail27GenericPackedTensorAccessorINS5_14TensorAccessorIN3c108ArrayRefIlEEKT_Lm4ENS4_16DefaultPtrTraitsEiEENS_6detail16IndexBoundsCheckILm5EiEESC_Lm5ESD_iEESI_NS6_INS7_ISA_SB_Lm4ESD_iEESH_SB_Lm5ESD_iEEiiiiiiiii,"axG",@progbits,_ZN2at6native12_GLOBAL__N_144conv_depthwise3d_cuda_backward_weight_kernelIffLi1ELi1EEEvN5torch10headeronly6detail27GenericPackedTensorAccessorINS5_14TensorAccessorIN3c108ArrayRefIlEEKT_Lm4ENS4_16DefaultPtrTraitsEiEENS_6detail16IndexBoundsCheckILm5EiEESC_Lm5ESD_iEESI_NS6_INS7_ISA_SB_Lm4ESD_iEESH_SB_Lm5ESD_iEEiiiiiiiii,comdat
.Lfunc_end35:
	.size	_ZN2at6native12_GLOBAL__N_144conv_depthwise3d_cuda_backward_weight_kernelIffLi1ELi1EEEvN5torch10headeronly6detail27GenericPackedTensorAccessorINS5_14TensorAccessorIN3c108ArrayRefIlEEKT_Lm4ENS4_16DefaultPtrTraitsEiEENS_6detail16IndexBoundsCheckILm5EiEESC_Lm5ESD_iEESI_NS6_INS7_ISA_SB_Lm4ESD_iEESH_SB_Lm5ESD_iEEiiiiiiiii, .Lfunc_end35-_ZN2at6native12_GLOBAL__N_144conv_depthwise3d_cuda_backward_weight_kernelIffLi1ELi1EEEvN5torch10headeronly6detail27GenericPackedTensorAccessorINS5_14TensorAccessorIN3c108ArrayRefIlEEKT_Lm4ENS4_16DefaultPtrTraitsEiEENS_6detail16IndexBoundsCheckILm5EiEESC_Lm5ESD_iEESI_NS6_INS7_ISA_SB_Lm4ESD_iEESH_SB_Lm5ESD_iEEiiiiiiiii
                                        ; -- End function
	.set _ZN2at6native12_GLOBAL__N_144conv_depthwise3d_cuda_backward_weight_kernelIffLi1ELi1EEEvN5torch10headeronly6detail27GenericPackedTensorAccessorINS5_14TensorAccessorIN3c108ArrayRefIlEEKT_Lm4ENS4_16DefaultPtrTraitsEiEENS_6detail16IndexBoundsCheckILm5EiEESC_Lm5ESD_iEESI_NS6_INS7_ISA_SB_Lm4ESD_iEESH_SB_Lm5ESD_iEEiiiiiiiii.num_vgpr, 19
	.set _ZN2at6native12_GLOBAL__N_144conv_depthwise3d_cuda_backward_weight_kernelIffLi1ELi1EEEvN5torch10headeronly6detail27GenericPackedTensorAccessorINS5_14TensorAccessorIN3c108ArrayRefIlEEKT_Lm4ENS4_16DefaultPtrTraitsEiEENS_6detail16IndexBoundsCheckILm5EiEESC_Lm5ESD_iEESI_NS6_INS7_ISA_SB_Lm4ESD_iEESH_SB_Lm5ESD_iEEiiiiiiiii.num_agpr, 0
	.set _ZN2at6native12_GLOBAL__N_144conv_depthwise3d_cuda_backward_weight_kernelIffLi1ELi1EEEvN5torch10headeronly6detail27GenericPackedTensorAccessorINS5_14TensorAccessorIN3c108ArrayRefIlEEKT_Lm4ENS4_16DefaultPtrTraitsEiEENS_6detail16IndexBoundsCheckILm5EiEESC_Lm5ESD_iEESI_NS6_INS7_ISA_SB_Lm4ESD_iEESH_SB_Lm5ESD_iEEiiiiiiiii.numbered_sgpr, 50
	.set _ZN2at6native12_GLOBAL__N_144conv_depthwise3d_cuda_backward_weight_kernelIffLi1ELi1EEEvN5torch10headeronly6detail27GenericPackedTensorAccessorINS5_14TensorAccessorIN3c108ArrayRefIlEEKT_Lm4ENS4_16DefaultPtrTraitsEiEENS_6detail16IndexBoundsCheckILm5EiEESC_Lm5ESD_iEESI_NS6_INS7_ISA_SB_Lm4ESD_iEESH_SB_Lm5ESD_iEEiiiiiiiii.num_named_barrier, 0
	.set _ZN2at6native12_GLOBAL__N_144conv_depthwise3d_cuda_backward_weight_kernelIffLi1ELi1EEEvN5torch10headeronly6detail27GenericPackedTensorAccessorINS5_14TensorAccessorIN3c108ArrayRefIlEEKT_Lm4ENS4_16DefaultPtrTraitsEiEENS_6detail16IndexBoundsCheckILm5EiEESC_Lm5ESD_iEESI_NS6_INS7_ISA_SB_Lm4ESD_iEESH_SB_Lm5ESD_iEEiiiiiiiii.private_seg_size, 0
	.set _ZN2at6native12_GLOBAL__N_144conv_depthwise3d_cuda_backward_weight_kernelIffLi1ELi1EEEvN5torch10headeronly6detail27GenericPackedTensorAccessorINS5_14TensorAccessorIN3c108ArrayRefIlEEKT_Lm4ENS4_16DefaultPtrTraitsEiEENS_6detail16IndexBoundsCheckILm5EiEESC_Lm5ESD_iEESI_NS6_INS7_ISA_SB_Lm4ESD_iEESH_SB_Lm5ESD_iEEiiiiiiiii.uses_vcc, 1
	.set _ZN2at6native12_GLOBAL__N_144conv_depthwise3d_cuda_backward_weight_kernelIffLi1ELi1EEEvN5torch10headeronly6detail27GenericPackedTensorAccessorINS5_14TensorAccessorIN3c108ArrayRefIlEEKT_Lm4ENS4_16DefaultPtrTraitsEiEENS_6detail16IndexBoundsCheckILm5EiEESC_Lm5ESD_iEESI_NS6_INS7_ISA_SB_Lm4ESD_iEESH_SB_Lm5ESD_iEEiiiiiiiii.uses_flat_scratch, 0
	.set _ZN2at6native12_GLOBAL__N_144conv_depthwise3d_cuda_backward_weight_kernelIffLi1ELi1EEEvN5torch10headeronly6detail27GenericPackedTensorAccessorINS5_14TensorAccessorIN3c108ArrayRefIlEEKT_Lm4ENS4_16DefaultPtrTraitsEiEENS_6detail16IndexBoundsCheckILm5EiEESC_Lm5ESD_iEESI_NS6_INS7_ISA_SB_Lm4ESD_iEESH_SB_Lm5ESD_iEEiiiiiiiii.has_dyn_sized_stack, 0
	.set _ZN2at6native12_GLOBAL__N_144conv_depthwise3d_cuda_backward_weight_kernelIffLi1ELi1EEEvN5torch10headeronly6detail27GenericPackedTensorAccessorINS5_14TensorAccessorIN3c108ArrayRefIlEEKT_Lm4ENS4_16DefaultPtrTraitsEiEENS_6detail16IndexBoundsCheckILm5EiEESC_Lm5ESD_iEESI_NS6_INS7_ISA_SB_Lm4ESD_iEESH_SB_Lm5ESD_iEEiiiiiiiii.has_recursion, 0
	.set _ZN2at6native12_GLOBAL__N_144conv_depthwise3d_cuda_backward_weight_kernelIffLi1ELi1EEEvN5torch10headeronly6detail27GenericPackedTensorAccessorINS5_14TensorAccessorIN3c108ArrayRefIlEEKT_Lm4ENS4_16DefaultPtrTraitsEiEENS_6detail16IndexBoundsCheckILm5EiEESC_Lm5ESD_iEESI_NS6_INS7_ISA_SB_Lm4ESD_iEESH_SB_Lm5ESD_iEEiiiiiiiii.has_indirect_call, 0
	.section	.AMDGPU.csdata,"",@progbits
; Kernel info:
; codeLenInByte = 1788
; TotalNumSgprs: 54
; NumVgprs: 19
; ScratchSize: 0
; MemoryBound: 0
; FloatMode: 240
; IeeeMode: 1
; LDSByteSize: 0 bytes/workgroup (compile time only)
; SGPRBlocks: 6
; VGPRBlocks: 4
; NumSGPRsForWavesPerEU: 54
; NumVGPRsForWavesPerEU: 19
; Occupancy: 10
; WaveLimiterHint : 1
; COMPUTE_PGM_RSRC2:SCRATCH_EN: 0
; COMPUTE_PGM_RSRC2:USER_SGPR: 6
; COMPUTE_PGM_RSRC2:TRAP_HANDLER: 0
; COMPUTE_PGM_RSRC2:TGID_X_EN: 1
; COMPUTE_PGM_RSRC2:TGID_Y_EN: 0
; COMPUTE_PGM_RSRC2:TGID_Z_EN: 0
; COMPUTE_PGM_RSRC2:TIDIG_COMP_CNT: 0
	.section	.text._ZN2at6native12_GLOBAL__N_144conv_depthwise3d_cuda_backward_weight_kernelIffLi2ELi2EEEvN5torch10headeronly6detail27GenericPackedTensorAccessorINS5_14TensorAccessorIN3c108ArrayRefIlEEKT_Lm4ENS4_16DefaultPtrTraitsEiEENS_6detail16IndexBoundsCheckILm5EiEESC_Lm5ESD_iEESI_NS6_INS7_ISA_SB_Lm4ESD_iEESH_SB_Lm5ESD_iEEiiiiiiiii,"axG",@progbits,_ZN2at6native12_GLOBAL__N_144conv_depthwise3d_cuda_backward_weight_kernelIffLi2ELi2EEEvN5torch10headeronly6detail27GenericPackedTensorAccessorINS5_14TensorAccessorIN3c108ArrayRefIlEEKT_Lm4ENS4_16DefaultPtrTraitsEiEENS_6detail16IndexBoundsCheckILm5EiEESC_Lm5ESD_iEESI_NS6_INS7_ISA_SB_Lm4ESD_iEESH_SB_Lm5ESD_iEEiiiiiiiii,comdat
	.globl	_ZN2at6native12_GLOBAL__N_144conv_depthwise3d_cuda_backward_weight_kernelIffLi2ELi2EEEvN5torch10headeronly6detail27GenericPackedTensorAccessorINS5_14TensorAccessorIN3c108ArrayRefIlEEKT_Lm4ENS4_16DefaultPtrTraitsEiEENS_6detail16IndexBoundsCheckILm5EiEESC_Lm5ESD_iEESI_NS6_INS7_ISA_SB_Lm4ESD_iEESH_SB_Lm5ESD_iEEiiiiiiiii ; -- Begin function _ZN2at6native12_GLOBAL__N_144conv_depthwise3d_cuda_backward_weight_kernelIffLi2ELi2EEEvN5torch10headeronly6detail27GenericPackedTensorAccessorINS5_14TensorAccessorIN3c108ArrayRefIlEEKT_Lm4ENS4_16DefaultPtrTraitsEiEENS_6detail16IndexBoundsCheckILm5EiEESC_Lm5ESD_iEESI_NS6_INS7_ISA_SB_Lm4ESD_iEESH_SB_Lm5ESD_iEEiiiiiiiii
	.p2align	8
	.type	_ZN2at6native12_GLOBAL__N_144conv_depthwise3d_cuda_backward_weight_kernelIffLi2ELi2EEEvN5torch10headeronly6detail27GenericPackedTensorAccessorINS5_14TensorAccessorIN3c108ArrayRefIlEEKT_Lm4ENS4_16DefaultPtrTraitsEiEENS_6detail16IndexBoundsCheckILm5EiEESC_Lm5ESD_iEESI_NS6_INS7_ISA_SB_Lm4ESD_iEESH_SB_Lm5ESD_iEEiiiiiiiii,@function
_ZN2at6native12_GLOBAL__N_144conv_depthwise3d_cuda_backward_weight_kernelIffLi2ELi2EEEvN5torch10headeronly6detail27GenericPackedTensorAccessorINS5_14TensorAccessorIN3c108ArrayRefIlEEKT_Lm4ENS4_16DefaultPtrTraitsEiEENS_6detail16IndexBoundsCheckILm5EiEESC_Lm5ESD_iEESI_NS6_INS7_ISA_SB_Lm4ESD_iEESH_SB_Lm5ESD_iEEiiiiiiiii: ; @_ZN2at6native12_GLOBAL__N_144conv_depthwise3d_cuda_backward_weight_kernelIffLi2ELi2EEEvN5torch10headeronly6detail27GenericPackedTensorAccessorINS5_14TensorAccessorIN3c108ArrayRefIlEEKT_Lm4ENS4_16DefaultPtrTraitsEiEENS_6detail16IndexBoundsCheckILm5EiEESC_Lm5ESD_iEESI_NS6_INS7_ISA_SB_Lm4ESD_iEESH_SB_Lm5ESD_iEEiiiiiiiii
; %bb.0:
	s_load_dwordx4 s[8:11], s[4:5], 0x70
	s_add_u32 s0, s4, 0x60
	s_addc_u32 s1, s5, 0
	s_load_dwordx4 s[16:19], s[4:5], 0x3c
	s_load_dwordx4 s[20:23], s[4:5], 0xc
	s_waitcnt lgkmcnt(0)
	v_cvt_f32_u32_e32 v1, s10
	v_cvt_f32_u32_e32 v2, s9
	s_sub_i32 s2, 0, s10
	v_rcp_iflag_f32_e32 v1, v1
	v_rcp_iflag_f32_e32 v2, v2
	v_mul_f32_e32 v1, 0x4f7ffffe, v1
	v_cvt_u32_f32_e32 v1, v1
	v_mul_f32_e32 v2, 0x4f7ffffe, v2
	v_cvt_u32_f32_e32 v2, v2
	v_readfirstlane_b32 s3, v1
	s_mul_i32 s2, s2, s3
	s_mul_hi_u32 s2, s3, s2
	s_add_i32 s3, s3, s2
	s_mul_hi_u32 s2, s6, s3
	s_mul_i32 s3, s2, s10
	s_sub_i32 s3, s6, s3
	s_add_i32 s12, s2, 1
	s_sub_i32 s13, s3, s10
	s_cmp_ge_u32 s3, s10
	s_cselect_b32 s2, s12, s2
	s_cselect_b32 s3, s13, s3
	s_add_i32 s12, s2, 1
	s_cmp_ge_u32 s3, s10
	v_cvt_f32_u32_e32 v1, s8
	v_readfirstlane_b32 s7, v2
	s_cselect_b32 s2, s12, s2
	s_sub_i32 s3, 0, s9
	s_mul_i32 s3, s3, s7
	s_mul_hi_u32 s3, s7, s3
	s_add_i32 s7, s7, s3
	v_rcp_iflag_f32_e32 v1, v1
	s_mul_hi_u32 s3, s2, s7
	s_mul_i32 s7, s3, s9
	s_sub_i32 s7, s2, s7
	s_add_i32 s12, s3, 1
	s_sub_i32 s13, s7, s9
	v_mul_f32_e32 v1, 0x4f7ffffe, v1
	s_cmp_ge_u32 s7, s9
	v_cvt_u32_f32_e32 v1, v1
	s_cselect_b32 s3, s12, s3
	s_cselect_b32 s7, s13, s7
	s_add_i32 s12, s3, 1
	s_cmp_ge_u32 s7, s9
	s_cselect_b32 s3, s12, s3
	s_sub_i32 s7, 0, s8
	v_readfirstlane_b32 s12, v1
	s_mul_i32 s7, s7, s12
	s_mul_hi_u32 s7, s12, s7
	s_add_i32 s12, s12, s7
	s_mul_hi_u32 s7, s3, s12
	s_mul_i32 s12, s7, s8
	s_sub_i32 s12, s3, s12
	s_add_i32 s13, s7, 1
	s_sub_i32 s14, s12, s8
	s_cmp_ge_u32 s12, s8
	s_cselect_b32 s7, s13, s7
	s_cselect_b32 s12, s14, s12
	s_add_i32 s13, s7, 1
	s_cmp_ge_u32 s12, s8
	s_cselect_b32 s33, s13, s7
	s_abs_i32 s7, s16
	v_cvt_f32_u32_e32 v1, s7
	s_sub_i32 s14, 0, s7
	s_abs_i32 s13, s20
	s_xor_b32 s12, s20, s16
	v_rcp_iflag_f32_e32 v1, v1
	s_ashr_i32 s12, s12, 31
	v_mul_f32_e32 v1, 0x4f7ffffe, v1
	v_cvt_u32_f32_e32 v1, v1
	v_readfirstlane_b32 s15, v1
	s_mul_i32 s14, s14, s15
	s_mul_hi_u32 s14, s15, s14
	s_add_i32 s15, s15, s14
	s_mul_hi_u32 s14, s13, s15
	s_mul_i32 s15, s14, s7
	s_sub_i32 s13, s13, s15
	s_add_i32 s15, s14, 1
	s_sub_i32 s16, s13, s7
	s_cmp_ge_u32 s13, s7
	s_cselect_b32 s14, s15, s14
	s_cselect_b32 s13, s16, s13
	s_add_i32 s15, s14, 1
	s_cmp_ge_u32 s13, s7
	s_cselect_b32 s7, s15, s14
	s_xor_b32 s7, s7, s12
	s_sub_i32 s25, s7, s12
	s_abs_i32 s24, s25
	v_cvt_f32_u32_e32 v1, s24
	s_load_dword s7, s[4:5], 0x68
	v_rcp_iflag_f32_e32 v1, v1
	s_waitcnt lgkmcnt(0)
	s_cmp_ge_i32 s33, s7
	v_mul_f32_e32 v1, 0x4f7ffffe, v1
	v_cvt_u32_f32_e32 v1, v1
	v_readfirstlane_b32 s26, v1
	s_cbranch_scc1 .LBB36_28
; %bb.1:
	s_load_dwordx2 s[34:35], s[0:1], 0x0
	s_load_dwordx4 s[12:15], s[0:1], 0x24
	s_mul_i32 s0, s2, s10
	s_sub_i32 s10, s6, s0
	s_mul_i32 s0, s3, s9
	s_sub_i32 s16, s2, s0
	s_load_dword s0, s[4:5], 0xc4
	s_load_dword s45, s[4:5], 0x38
	s_mul_i32 s1, s33, s8
	v_lshrrev_b32_e32 v4, 6, v0
	s_sub_i32 s20, s3, s1
	s_waitcnt lgkmcnt(0)
	s_and_b32 s44, s0, 0xffff
	s_mul_i32 s45, s45, s21
	v_cmp_gt_i32_e32 vcc, s45, v4
	v_mov_b32_e32 v8, 0
	s_and_saveexec_b64 s[6:7], vcc
	s_cbranch_execz .LBB36_23
; %bb.2:
	s_sub_i32 s3, 0, s24
	s_mul_i32 s3, s3, s26
	s_mul_hi_u32 s3, s26, s3
	s_abs_i32 s2, s33
	s_add_i32 s26, s26, s3
	s_ashr_i32 s0, s33, 31
	s_ashr_i32 s1, s25, 31
	s_mul_hi_u32 s3, s2, s26
	s_xor_b32 s28, s0, s1
	s_mul_i32 s0, s3, s24
	s_sub_i32 s0, s2, s0
	s_lshr_b32 s46, s44, 6
	s_add_i32 s1, s3, 1
	s_sub_i32 s2, s0, s24
	s_cmp_ge_u32 s0, s24
	s_cselect_b32 s1, s1, s3
	s_cselect_b32 s0, s2, s0
	s_add_i32 s2, s1, 1
	s_cmp_ge_u32 s0, s24
	s_cselect_b32 s29, s2, s1
	s_abs_i32 s42, s21
	v_cvt_f32_u32_e32 v1, s42
	s_sub_i32 s0, 0, s42
	s_ashr_i32 s43, s21, 31
	v_and_b32_e32 v8, 63, v0
	v_rcp_iflag_f32_e32 v1, v1
	v_mov_b32_e32 v7, 0
	v_lshlrev_b32_e32 v11, 2, v8
	v_mul_f32_e32 v1, 0x4f7ffffe, v1
	v_cvt_u32_f32_e32 v1, v1
	v_mul_lo_u32 v2, s0, v1
	s_load_dwordx4 s[0:3], s[4:5], 0x9c
	s_load_dwordx2 s[8:9], s[4:5], 0xac
	s_load_dwordx2 s[36:37], s[4:5], 0x0
	s_load_dwordx4 s[24:27], s[4:5], 0x1c
	v_mul_hi_u32 v2, v1, v2
	s_waitcnt lgkmcnt(0)
	s_mul_i32 s3, s20, s3
	s_sub_i32 s27, s3, s0
	s_xor_b32 s0, s29, s28
	s_sub_i32 s0, s0, s28
	s_load_dwordx2 s[40:41], s[4:5], 0x30
	s_load_dwordx4 s[28:31], s[4:5], 0x4c
	s_mul_i32 s38, s25, s33
	s_ashr_i32 s39, s38, 31
	s_lshl_b64 s[4:5], s[38:39], 2
	s_add_u32 s25, s36, s4
	s_waitcnt lgkmcnt(0)
	s_mul_i32 s4, s29, s0
	s_addc_u32 s31, s37, s5
	s_ashr_i32 s5, s4, 31
	s_lshl_b64 s[4:5], s[4:5], 2
	s_add_u32 s29, s40, s4
	s_addc_u32 s47, s41, s5
	s_abs_i32 s0, s23
	v_cvt_f32_u32_e32 v3, s0
	v_add_u32_e32 v1, v1, v2
	v_mul_hi_u32 v1, v4, v1
	s_sub_i32 s3, 0, s0
	v_rcp_iflag_f32_e32 v3, v3
	v_mul_lo_u32 v2, v1, s42
	v_add_u32_e32 v5, 1, v1
	v_mul_f32_e32 v3, 0x4f7ffffe, v3
	v_cvt_u32_f32_e32 v3, v3
	v_sub_u32_e32 v2, v4, v2
	v_cmp_le_u32_e32 vcc, s42, v2
	v_cndmask_b32_e32 v1, v1, v5, vcc
	v_subrev_u32_e32 v5, s42, v2
	v_cndmask_b32_e32 v2, v2, v5, vcc
	v_mul_lo_u32 v5, s3, v3
	v_cmp_le_u32_e32 vcc, s42, v2
	v_add_u32_e32 v6, 1, v1
	v_cndmask_b32_e32 v1, v1, v6, vcc
	v_mul_hi_u32 v2, v3, v5
	v_xor_b32_e32 v1, s43, v1
	v_subrev_u32_e32 v5, s43, v1
	v_mul_lo_u32 v1, v5, s21
	v_add_u32_e32 v2, v3, v2
	v_mul_hi_u32 v2, v8, v2
	s_mul_i32 s3, s10, s9
	v_sub_u32_e32 v6, v4, v1
	s_sub_i32 s48, s3, s2
	v_mul_lo_u32 v1, v2, s0
	v_add_u32_e32 v3, 1, v2
	s_ashr_i32 s2, s23, 31
	v_sub_u32_e32 v1, v8, v1
	v_cmp_le_u32_e32 vcc, s0, v1
	v_cndmask_b32_e32 v2, v2, v3, vcc
	v_subrev_u32_e32 v3, s0, v1
	v_cndmask_b32_e32 v1, v1, v3, vcc
	v_add_u32_e32 v3, 1, v2
	v_cmp_le_u32_e32 vcc, s0, v1
	v_cndmask_b32_e32 v1, v2, v3, vcc
	v_xor_b32_e32 v1, s2, v1
	v_subrev_u32_e32 v9, s2, v1
	v_mul_lo_u32 v1, v9, s23
	s_mul_i32 s0, s16, s8
	s_sub_i32 s49, s0, s1
	v_cmp_gt_i32_e64 s[0:1], s22, v9
	v_sub_u32_e32 v10, v8, v1
	s_mov_b64 s[8:9], 0
	v_mov_b32_e32 v8, 0
	s_branch .LBB36_6
.LBB36_3:                               ;   in Loop: Header=BB36_6 Depth=1
	s_or_b64 exec, exec, s[40:41]
.LBB36_4:                               ;   in Loop: Header=BB36_6 Depth=1
	s_or_b64 exec, exec, s[38:39]
.LBB36_5:                               ;   in Loop: Header=BB36_6 Depth=1
	s_or_b64 exec, exec, s[36:37]
	v_add_u32_e32 v4, s46, v4
	v_cmp_le_i32_e32 vcc, s45, v4
	s_or_b64 s[8:9], vcc, s[8:9]
	v_add_u32_e32 v6, s46, v6
	s_andn2_b64 exec, exec, s[8:9]
	s_cbranch_execz .LBB36_22
.LBB36_6:                               ; =>This Loop Header: Depth=1
                                        ;     Child Loop BB36_8 Depth 2
                                        ;     Child Loop BB36_14 Depth 2
                                        ;       Child Loop BB36_20 Depth 3
	v_cmp_le_i32_e32 vcc, s21, v6
	s_and_saveexec_b64 s[2:3], vcc
	s_cbranch_execz .LBB36_10
; %bb.7:                                ;   in Loop: Header=BB36_6 Depth=1
	s_mov_b64 s[4:5], 0
.LBB36_8:                               ;   Parent Loop BB36_6 Depth=1
                                        ; =>  This Inner Loop Header: Depth=2
	v_subrev_u32_e32 v6, s21, v6
	v_cmp_gt_i32_e32 vcc, s21, v6
	s_or_b64 s[4:5], vcc, s[4:5]
	v_add_u32_e32 v5, 1, v5
	s_andn2_b64 exec, exec, s[4:5]
	s_cbranch_execnz .LBB36_8
; %bb.9:                                ;   in Loop: Header=BB36_6 Depth=1
	s_or_b64 exec, exec, s[4:5]
.LBB36_10:                              ;   in Loop: Header=BB36_6 Depth=1
	s_or_b64 exec, exec, s[2:3]
	v_mul_lo_u32 v1, v6, s15
	v_add_u32_e32 v1, s27, v1
	v_cmp_lt_i32_e32 vcc, -1, v1
	v_cmp_gt_i32_e64 s[2:3], s17, v1
	s_and_b64 s[2:3], vcc, s[2:3]
	s_and_saveexec_b64 s[36:37], s[2:3]
	s_cbranch_execz .LBB36_5
; %bb.11:                               ;   in Loop: Header=BB36_6 Depth=1
	s_and_saveexec_b64 s[38:39], s[0:1]
	s_cbranch_execz .LBB36_4
; %bb.12:                               ;   in Loop: Header=BB36_6 Depth=1
	v_mul_lo_u32 v2, s28, v5
	v_mul_lo_u32 v1, s30, v1
	;; [unrolled: 1-line block ×3, first 2 shown]
	v_mov_b32_e32 v12, s47
	v_ashrrev_i32_e32 v3, 31, v2
	v_lshlrev_b64 v[2:3], 2, v[2:3]
	v_ashrrev_i32_e32 v15, 31, v14
	v_add_co_u32_e32 v13, vcc, s29, v2
	v_ashrrev_i32_e32 v2, 31, v1
	v_lshlrev_b64 v[1:2], 2, v[1:2]
	v_addc_co_u32_e32 v3, vcc, v12, v3, vcc
	v_add_co_u32_e32 v12, vcc, v13, v1
	v_addc_co_u32_e32 v13, vcc, v3, v2, vcc
	v_lshlrev_b64 v[1:2], 2, v[14:15]
	v_mul_lo_u32 v14, s26, v6
	v_mov_b32_e32 v3, s31
	v_add_co_u32_e32 v16, vcc, s25, v1
	v_ashrrev_i32_e32 v15, 31, v14
	v_addc_co_u32_e32 v3, vcc, v3, v2, vcc
	v_lshlrev_b64 v[1:2], 2, v[14:15]
	s_mov_b64 s[40:41], 0
	v_add_co_u32_e32 v1, vcc, v16, v1
	v_addc_co_u32_e32 v2, vcc, v3, v2, vcc
	v_add_co_u32_e32 v1, vcc, v1, v11
	v_addc_co_u32_e32 v2, vcc, 0, v2, vcc
	v_mov_b32_e32 v14, v10
	v_mov_b32_e32 v15, v9
	s_branch .LBB36_14
.LBB36_13:                              ;   in Loop: Header=BB36_14 Depth=2
	s_or_b64 exec, exec, s[2:3]
	v_add_co_u32_e32 v1, vcc, 0x100, v1
	v_addc_co_u32_e32 v2, vcc, 0, v2, vcc
	v_cmp_le_i32_e32 vcc, s22, v15
	s_or_b64 s[40:41], vcc, s[40:41]
	s_waitcnt vmcnt(0)
	v_fmac_f32_e32 v8, v16, v17
	s_andn2_b64 exec, exec, s[40:41]
	s_cbranch_execz .LBB36_3
.LBB36_14:                              ;   Parent Loop BB36_6 Depth=1
                                        ; =>  This Loop Header: Depth=2
                                        ;       Child Loop BB36_20 Depth 3
	global_load_dword v16, v[1:2], off
	v_lshl_add_u32 v3, v14, 1, s48
	v_cmp_lt_i32_e32 vcc, -1, v3
	v_mov_b32_e32 v17, 0
	s_and_saveexec_b64 s[42:43], vcc
	s_cbranch_execz .LBB36_18
; %bb.15:                               ;   in Loop: Header=BB36_14 Depth=2
	v_lshl_add_u32 v18, v15, 1, s49
	v_cmp_gt_i32_e32 vcc, s19, v3
	v_cmp_gt_i32_e64 s[4:5], s18, v18
	v_cmp_lt_i32_e64 s[2:3], -1, v18
	s_and_b64 s[4:5], vcc, s[4:5]
	s_and_b64 s[4:5], s[4:5], s[2:3]
	v_mov_b32_e32 v17, 0
	s_and_saveexec_b64 s[2:3], s[4:5]
	s_cbranch_execz .LBB36_17
; %bb.16:                               ;   in Loop: Header=BB36_14 Depth=2
	v_mad_u64_u32 v[17:18], s[4:5], v18, s19, v[3:4]
	v_mov_b32_e32 v18, v7
	v_lshlrev_b64 v[17:18], 2, v[17:18]
	v_add_co_u32_e32 v17, vcc, v12, v17
	v_addc_co_u32_e32 v18, vcc, v13, v18, vcc
	global_load_dword v17, v[17:18], off
.LBB36_17:                              ;   in Loop: Header=BB36_14 Depth=2
	s_or_b64 exec, exec, s[2:3]
.LBB36_18:                              ;   in Loop: Header=BB36_14 Depth=2
	s_or_b64 exec, exec, s[42:43]
	v_add_u32_e32 v14, 64, v14
	v_cmp_le_i32_e32 vcc, s23, v14
	s_and_saveexec_b64 s[2:3], vcc
	s_cbranch_execz .LBB36_13
; %bb.19:                               ;   in Loop: Header=BB36_14 Depth=2
	s_mov_b64 s[4:5], 0
.LBB36_20:                              ;   Parent Loop BB36_6 Depth=1
                                        ;     Parent Loop BB36_14 Depth=2
                                        ; =>    This Inner Loop Header: Depth=3
	v_subrev_u32_e32 v14, s23, v14
	v_cmp_gt_i32_e32 vcc, s23, v14
	s_or_b64 s[4:5], vcc, s[4:5]
	v_add_u32_e32 v15, 1, v15
	s_andn2_b64 exec, exec, s[4:5]
	s_cbranch_execnz .LBB36_20
; %bb.21:                               ;   in Loop: Header=BB36_14 Depth=2
	s_or_b64 exec, exec, s[4:5]
	s_branch .LBB36_13
.LBB36_22:
	s_or_b64 exec, exec, s[8:9]
.LBB36_23:
	s_or_b64 exec, exec, s[6:7]
	s_bcnt1_i32_b32 s0, s44
	v_lshl_add_u32 v1, v0, 2, 0
	s_cmp_lg_u32 s0, 1
	s_mov_b64 s[0:1], -1
	ds_write_b32 v1, v8
	s_waitcnt lgkmcnt(0)
	s_barrier
	s_cbranch_scc1 .LBB36_32
; %bb.24:
	s_andn2_b64 vcc, exec, s[0:1]
	s_cbranch_vccnz .LBB36_28
.LBB36_25:
	s_cmp_lt_u32 s44, 2
	s_cbranch_scc0 .LBB36_30
.LBB36_26:
	v_cmp_eq_u32_e32 vcc, 0, v0
	s_and_saveexec_b64 s[0:1], vcc
	s_cbranch_execz .LBB36_28
; %bb.27:
	s_mul_i32 s0, s11, s33
	s_ashr_i32 s1, s0, 31
	s_lshl_b64 s[0:1], s[0:1], 2
	s_add_u32 s2, s34, s0
	s_mul_i32 s0, s12, s20
	s_addc_u32 s3, s35, s1
	s_ashr_i32 s1, s0, 31
	s_lshl_b64 s[0:1], s[0:1], 2
	s_add_u32 s2, s2, s0
	s_mul_i32 s0, s13, s16
	s_addc_u32 s3, s3, s1
	s_ashr_i32 s1, s0, 31
	s_lshl_b64 s[0:1], s[0:1], 2
	v_mov_b32_e32 v0, 0
	s_add_u32 s2, s2, s0
	s_mul_i32 s0, s14, s10
	ds_read_b32 v1, v0
	s_addc_u32 s3, s3, s1
	s_ashr_i32 s1, s0, 31
	s_lshl_b64 s[0:1], s[0:1], 2
	s_add_u32 s0, s2, s0
	s_addc_u32 s1, s3, s1
	s_waitcnt lgkmcnt(0)
	global_store_dword v0, v1, s[0:1]
.LBB36_28:
	s_endpgm
.LBB36_29:                              ;   in Loop: Header=BB36_30 Depth=1
	s_or_b64 exec, exec, s[0:1]
	s_cmp_lt_u32 s44, 4
	s_mov_b32 s44, s2
	s_waitcnt lgkmcnt(0)
	s_barrier
	s_cbranch_scc1 .LBB36_26
.LBB36_30:                              ; =>This Inner Loop Header: Depth=1
	s_lshr_b32 s2, s44, 1
	v_cmp_gt_u32_e32 vcc, s2, v0
	s_and_saveexec_b64 s[0:1], vcc
	s_cbranch_execz .LBB36_29
; %bb.31:                               ;   in Loop: Header=BB36_30 Depth=1
	v_lshl_add_u32 v2, s2, 2, v1
	ds_read_b32 v2, v2
	ds_read_b32 v3, v1
	s_waitcnt lgkmcnt(0)
	v_add_f32_e32 v2, v2, v3
	ds_write_b32 v1, v2
	s_branch .LBB36_29
.LBB36_32:
	s_trap 2
	; divergent unreachable
	s_cbranch_execz .LBB36_25
	s_branch .LBB36_28
	.section	.rodata,"a",@progbits
	.p2align	6, 0x0
	.amdhsa_kernel _ZN2at6native12_GLOBAL__N_144conv_depthwise3d_cuda_backward_weight_kernelIffLi2ELi2EEEvN5torch10headeronly6detail27GenericPackedTensorAccessorINS5_14TensorAccessorIN3c108ArrayRefIlEEKT_Lm4ENS4_16DefaultPtrTraitsEiEENS_6detail16IndexBoundsCheckILm5EiEESC_Lm5ESD_iEESI_NS6_INS7_ISA_SB_Lm4ESD_iEESH_SB_Lm5ESD_iEEiiiiiiiii
		.amdhsa_group_segment_fixed_size 0
		.amdhsa_private_segment_fixed_size 0
		.amdhsa_kernarg_size 440
		.amdhsa_user_sgpr_count 6
		.amdhsa_user_sgpr_private_segment_buffer 1
		.amdhsa_user_sgpr_dispatch_ptr 0
		.amdhsa_user_sgpr_queue_ptr 0
		.amdhsa_user_sgpr_kernarg_segment_ptr 1
		.amdhsa_user_sgpr_dispatch_id 0
		.amdhsa_user_sgpr_flat_scratch_init 0
		.amdhsa_user_sgpr_private_segment_size 0
		.amdhsa_uses_dynamic_stack 0
		.amdhsa_system_sgpr_private_segment_wavefront_offset 0
		.amdhsa_system_sgpr_workgroup_id_x 1
		.amdhsa_system_sgpr_workgroup_id_y 0
		.amdhsa_system_sgpr_workgroup_id_z 0
		.amdhsa_system_sgpr_workgroup_info 0
		.amdhsa_system_vgpr_workitem_id 0
		.amdhsa_next_free_vgpr 19
		.amdhsa_next_free_sgpr 50
		.amdhsa_reserve_vcc 1
		.amdhsa_reserve_flat_scratch 0
		.amdhsa_float_round_mode_32 0
		.amdhsa_float_round_mode_16_64 0
		.amdhsa_float_denorm_mode_32 3
		.amdhsa_float_denorm_mode_16_64 3
		.amdhsa_dx10_clamp 1
		.amdhsa_ieee_mode 1
		.amdhsa_fp16_overflow 0
		.amdhsa_exception_fp_ieee_invalid_op 0
		.amdhsa_exception_fp_denorm_src 0
		.amdhsa_exception_fp_ieee_div_zero 0
		.amdhsa_exception_fp_ieee_overflow 0
		.amdhsa_exception_fp_ieee_underflow 0
		.amdhsa_exception_fp_ieee_inexact 0
		.amdhsa_exception_int_div_zero 0
	.end_amdhsa_kernel
	.section	.text._ZN2at6native12_GLOBAL__N_144conv_depthwise3d_cuda_backward_weight_kernelIffLi2ELi2EEEvN5torch10headeronly6detail27GenericPackedTensorAccessorINS5_14TensorAccessorIN3c108ArrayRefIlEEKT_Lm4ENS4_16DefaultPtrTraitsEiEENS_6detail16IndexBoundsCheckILm5EiEESC_Lm5ESD_iEESI_NS6_INS7_ISA_SB_Lm4ESD_iEESH_SB_Lm5ESD_iEEiiiiiiiii,"axG",@progbits,_ZN2at6native12_GLOBAL__N_144conv_depthwise3d_cuda_backward_weight_kernelIffLi2ELi2EEEvN5torch10headeronly6detail27GenericPackedTensorAccessorINS5_14TensorAccessorIN3c108ArrayRefIlEEKT_Lm4ENS4_16DefaultPtrTraitsEiEENS_6detail16IndexBoundsCheckILm5EiEESC_Lm5ESD_iEESI_NS6_INS7_ISA_SB_Lm4ESD_iEESH_SB_Lm5ESD_iEEiiiiiiiii,comdat
.Lfunc_end36:
	.size	_ZN2at6native12_GLOBAL__N_144conv_depthwise3d_cuda_backward_weight_kernelIffLi2ELi2EEEvN5torch10headeronly6detail27GenericPackedTensorAccessorINS5_14TensorAccessorIN3c108ArrayRefIlEEKT_Lm4ENS4_16DefaultPtrTraitsEiEENS_6detail16IndexBoundsCheckILm5EiEESC_Lm5ESD_iEESI_NS6_INS7_ISA_SB_Lm4ESD_iEESH_SB_Lm5ESD_iEEiiiiiiiii, .Lfunc_end36-_ZN2at6native12_GLOBAL__N_144conv_depthwise3d_cuda_backward_weight_kernelIffLi2ELi2EEEvN5torch10headeronly6detail27GenericPackedTensorAccessorINS5_14TensorAccessorIN3c108ArrayRefIlEEKT_Lm4ENS4_16DefaultPtrTraitsEiEENS_6detail16IndexBoundsCheckILm5EiEESC_Lm5ESD_iEESI_NS6_INS7_ISA_SB_Lm4ESD_iEESH_SB_Lm5ESD_iEEiiiiiiiii
                                        ; -- End function
	.set _ZN2at6native12_GLOBAL__N_144conv_depthwise3d_cuda_backward_weight_kernelIffLi2ELi2EEEvN5torch10headeronly6detail27GenericPackedTensorAccessorINS5_14TensorAccessorIN3c108ArrayRefIlEEKT_Lm4ENS4_16DefaultPtrTraitsEiEENS_6detail16IndexBoundsCheckILm5EiEESC_Lm5ESD_iEESI_NS6_INS7_ISA_SB_Lm4ESD_iEESH_SB_Lm5ESD_iEEiiiiiiiii.num_vgpr, 19
	.set _ZN2at6native12_GLOBAL__N_144conv_depthwise3d_cuda_backward_weight_kernelIffLi2ELi2EEEvN5torch10headeronly6detail27GenericPackedTensorAccessorINS5_14TensorAccessorIN3c108ArrayRefIlEEKT_Lm4ENS4_16DefaultPtrTraitsEiEENS_6detail16IndexBoundsCheckILm5EiEESC_Lm5ESD_iEESI_NS6_INS7_ISA_SB_Lm4ESD_iEESH_SB_Lm5ESD_iEEiiiiiiiii.num_agpr, 0
	.set _ZN2at6native12_GLOBAL__N_144conv_depthwise3d_cuda_backward_weight_kernelIffLi2ELi2EEEvN5torch10headeronly6detail27GenericPackedTensorAccessorINS5_14TensorAccessorIN3c108ArrayRefIlEEKT_Lm4ENS4_16DefaultPtrTraitsEiEENS_6detail16IndexBoundsCheckILm5EiEESC_Lm5ESD_iEESI_NS6_INS7_ISA_SB_Lm4ESD_iEESH_SB_Lm5ESD_iEEiiiiiiiii.numbered_sgpr, 50
	.set _ZN2at6native12_GLOBAL__N_144conv_depthwise3d_cuda_backward_weight_kernelIffLi2ELi2EEEvN5torch10headeronly6detail27GenericPackedTensorAccessorINS5_14TensorAccessorIN3c108ArrayRefIlEEKT_Lm4ENS4_16DefaultPtrTraitsEiEENS_6detail16IndexBoundsCheckILm5EiEESC_Lm5ESD_iEESI_NS6_INS7_ISA_SB_Lm4ESD_iEESH_SB_Lm5ESD_iEEiiiiiiiii.num_named_barrier, 0
	.set _ZN2at6native12_GLOBAL__N_144conv_depthwise3d_cuda_backward_weight_kernelIffLi2ELi2EEEvN5torch10headeronly6detail27GenericPackedTensorAccessorINS5_14TensorAccessorIN3c108ArrayRefIlEEKT_Lm4ENS4_16DefaultPtrTraitsEiEENS_6detail16IndexBoundsCheckILm5EiEESC_Lm5ESD_iEESI_NS6_INS7_ISA_SB_Lm4ESD_iEESH_SB_Lm5ESD_iEEiiiiiiiii.private_seg_size, 0
	.set _ZN2at6native12_GLOBAL__N_144conv_depthwise3d_cuda_backward_weight_kernelIffLi2ELi2EEEvN5torch10headeronly6detail27GenericPackedTensorAccessorINS5_14TensorAccessorIN3c108ArrayRefIlEEKT_Lm4ENS4_16DefaultPtrTraitsEiEENS_6detail16IndexBoundsCheckILm5EiEESC_Lm5ESD_iEESI_NS6_INS7_ISA_SB_Lm4ESD_iEESH_SB_Lm5ESD_iEEiiiiiiiii.uses_vcc, 1
	.set _ZN2at6native12_GLOBAL__N_144conv_depthwise3d_cuda_backward_weight_kernelIffLi2ELi2EEEvN5torch10headeronly6detail27GenericPackedTensorAccessorINS5_14TensorAccessorIN3c108ArrayRefIlEEKT_Lm4ENS4_16DefaultPtrTraitsEiEENS_6detail16IndexBoundsCheckILm5EiEESC_Lm5ESD_iEESI_NS6_INS7_ISA_SB_Lm4ESD_iEESH_SB_Lm5ESD_iEEiiiiiiiii.uses_flat_scratch, 0
	.set _ZN2at6native12_GLOBAL__N_144conv_depthwise3d_cuda_backward_weight_kernelIffLi2ELi2EEEvN5torch10headeronly6detail27GenericPackedTensorAccessorINS5_14TensorAccessorIN3c108ArrayRefIlEEKT_Lm4ENS4_16DefaultPtrTraitsEiEENS_6detail16IndexBoundsCheckILm5EiEESC_Lm5ESD_iEESI_NS6_INS7_ISA_SB_Lm4ESD_iEESH_SB_Lm5ESD_iEEiiiiiiiii.has_dyn_sized_stack, 0
	.set _ZN2at6native12_GLOBAL__N_144conv_depthwise3d_cuda_backward_weight_kernelIffLi2ELi2EEEvN5torch10headeronly6detail27GenericPackedTensorAccessorINS5_14TensorAccessorIN3c108ArrayRefIlEEKT_Lm4ENS4_16DefaultPtrTraitsEiEENS_6detail16IndexBoundsCheckILm5EiEESC_Lm5ESD_iEESI_NS6_INS7_ISA_SB_Lm4ESD_iEESH_SB_Lm5ESD_iEEiiiiiiiii.has_recursion, 0
	.set _ZN2at6native12_GLOBAL__N_144conv_depthwise3d_cuda_backward_weight_kernelIffLi2ELi2EEEvN5torch10headeronly6detail27GenericPackedTensorAccessorINS5_14TensorAccessorIN3c108ArrayRefIlEEKT_Lm4ENS4_16DefaultPtrTraitsEiEENS_6detail16IndexBoundsCheckILm5EiEESC_Lm5ESD_iEESI_NS6_INS7_ISA_SB_Lm4ESD_iEESH_SB_Lm5ESD_iEEiiiiiiiii.has_indirect_call, 0
	.section	.AMDGPU.csdata,"",@progbits
; Kernel info:
; codeLenInByte = 1796
; TotalNumSgprs: 54
; NumVgprs: 19
; ScratchSize: 0
; MemoryBound: 0
; FloatMode: 240
; IeeeMode: 1
; LDSByteSize: 0 bytes/workgroup (compile time only)
; SGPRBlocks: 6
; VGPRBlocks: 4
; NumSGPRsForWavesPerEU: 54
; NumVGPRsForWavesPerEU: 19
; Occupancy: 10
; WaveLimiterHint : 1
; COMPUTE_PGM_RSRC2:SCRATCH_EN: 0
; COMPUTE_PGM_RSRC2:USER_SGPR: 6
; COMPUTE_PGM_RSRC2:TRAP_HANDLER: 0
; COMPUTE_PGM_RSRC2:TGID_X_EN: 1
; COMPUTE_PGM_RSRC2:TGID_Y_EN: 0
; COMPUTE_PGM_RSRC2:TGID_Z_EN: 0
; COMPUTE_PGM_RSRC2:TIDIG_COMP_CNT: 0
	.section	.text._ZN2at6native12_GLOBAL__N_144conv_depthwise3d_cuda_backward_weight_kernelIffLin1ELin1EEEvN5torch10headeronly6detail27GenericPackedTensorAccessorINS5_14TensorAccessorIN3c108ArrayRefIlEEKT_Lm4ENS4_16DefaultPtrTraitsEiEENS_6detail16IndexBoundsCheckILm5EiEESC_Lm5ESD_iEESI_NS6_INS7_ISA_SB_Lm4ESD_iEESH_SB_Lm5ESD_iEEiiiiiiiii,"axG",@progbits,_ZN2at6native12_GLOBAL__N_144conv_depthwise3d_cuda_backward_weight_kernelIffLin1ELin1EEEvN5torch10headeronly6detail27GenericPackedTensorAccessorINS5_14TensorAccessorIN3c108ArrayRefIlEEKT_Lm4ENS4_16DefaultPtrTraitsEiEENS_6detail16IndexBoundsCheckILm5EiEESC_Lm5ESD_iEESI_NS6_INS7_ISA_SB_Lm4ESD_iEESH_SB_Lm5ESD_iEEiiiiiiiii,comdat
	.globl	_ZN2at6native12_GLOBAL__N_144conv_depthwise3d_cuda_backward_weight_kernelIffLin1ELin1EEEvN5torch10headeronly6detail27GenericPackedTensorAccessorINS5_14TensorAccessorIN3c108ArrayRefIlEEKT_Lm4ENS4_16DefaultPtrTraitsEiEENS_6detail16IndexBoundsCheckILm5EiEESC_Lm5ESD_iEESI_NS6_INS7_ISA_SB_Lm4ESD_iEESH_SB_Lm5ESD_iEEiiiiiiiii ; -- Begin function _ZN2at6native12_GLOBAL__N_144conv_depthwise3d_cuda_backward_weight_kernelIffLin1ELin1EEEvN5torch10headeronly6detail27GenericPackedTensorAccessorINS5_14TensorAccessorIN3c108ArrayRefIlEEKT_Lm4ENS4_16DefaultPtrTraitsEiEENS_6detail16IndexBoundsCheckILm5EiEESC_Lm5ESD_iEESI_NS6_INS7_ISA_SB_Lm4ESD_iEESH_SB_Lm5ESD_iEEiiiiiiiii
	.p2align	8
	.type	_ZN2at6native12_GLOBAL__N_144conv_depthwise3d_cuda_backward_weight_kernelIffLin1ELin1EEEvN5torch10headeronly6detail27GenericPackedTensorAccessorINS5_14TensorAccessorIN3c108ArrayRefIlEEKT_Lm4ENS4_16DefaultPtrTraitsEiEENS_6detail16IndexBoundsCheckILm5EiEESC_Lm5ESD_iEESI_NS6_INS7_ISA_SB_Lm4ESD_iEESH_SB_Lm5ESD_iEEiiiiiiiii,@function
_ZN2at6native12_GLOBAL__N_144conv_depthwise3d_cuda_backward_weight_kernelIffLin1ELin1EEEvN5torch10headeronly6detail27GenericPackedTensorAccessorINS5_14TensorAccessorIN3c108ArrayRefIlEEKT_Lm4ENS4_16DefaultPtrTraitsEiEENS_6detail16IndexBoundsCheckILm5EiEESC_Lm5ESD_iEESI_NS6_INS7_ISA_SB_Lm4ESD_iEESH_SB_Lm5ESD_iEEiiiiiiiii: ; @_ZN2at6native12_GLOBAL__N_144conv_depthwise3d_cuda_backward_weight_kernelIffLin1ELin1EEEvN5torch10headeronly6detail27GenericPackedTensorAccessorINS5_14TensorAccessorIN3c108ArrayRefIlEEKT_Lm4ENS4_16DefaultPtrTraitsEiEENS_6detail16IndexBoundsCheckILm5EiEESC_Lm5ESD_iEESI_NS6_INS7_ISA_SB_Lm4ESD_iEESH_SB_Lm5ESD_iEEiiiiiiiii
; %bb.0:
	s_load_dwordx4 s[16:19], s[4:5], 0x70
	s_add_u32 s28, s4, 0x60
	s_addc_u32 s29, s5, 0
	s_load_dwordx4 s[20:23], s[4:5], 0x3c
	s_load_dwordx4 s[24:27], s[4:5], 0xc
	s_waitcnt lgkmcnt(0)
	v_cvt_f32_u32_e32 v1, s18
	v_cvt_f32_u32_e32 v2, s17
	s_sub_i32 s0, 0, s18
	v_rcp_iflag_f32_e32 v1, v1
	v_rcp_iflag_f32_e32 v2, v2
	v_mul_f32_e32 v1, 0x4f7ffffe, v1
	v_cvt_u32_f32_e32 v1, v1
	v_mul_f32_e32 v2, 0x4f7ffffe, v2
	v_cvt_u32_f32_e32 v2, v2
	v_readfirstlane_b32 s1, v1
	s_mul_i32 s0, s0, s1
	s_mul_hi_u32 s0, s1, s0
	s_add_i32 s1, s1, s0
	s_mul_hi_u32 s0, s6, s1
	s_mul_i32 s1, s0, s18
	s_sub_i32 s1, s6, s1
	s_add_i32 s3, s0, 1
	s_sub_i32 s7, s1, s18
	s_cmp_ge_u32 s1, s18
	s_cselect_b32 s0, s3, s0
	s_cselect_b32 s1, s7, s1
	s_add_i32 s3, s0, 1
	s_cmp_ge_u32 s1, s18
	v_cvt_f32_u32_e32 v1, s16
	v_readfirstlane_b32 s2, v2
	s_cselect_b32 s0, s3, s0
	s_sub_i32 s1, 0, s17
	s_mul_i32 s1, s1, s2
	s_mul_hi_u32 s1, s2, s1
	s_add_i32 s2, s2, s1
	v_rcp_iflag_f32_e32 v1, v1
	s_mul_hi_u32 s1, s0, s2
	s_mul_i32 s2, s1, s17
	s_sub_i32 s2, s0, s2
	s_add_i32 s3, s1, 1
	s_sub_i32 s7, s2, s17
	v_mul_f32_e32 v1, 0x4f7ffffe, v1
	s_cmp_ge_u32 s2, s17
	v_cvt_u32_f32_e32 v1, v1
	s_cselect_b32 s1, s3, s1
	s_cselect_b32 s2, s7, s2
	s_add_i32 s3, s1, 1
	s_cmp_ge_u32 s2, s17
	s_cselect_b32 s7, s3, s1
	s_sub_i32 s1, 0, s16
	v_readfirstlane_b32 s2, v1
	s_mul_i32 s1, s1, s2
	s_mul_hi_u32 s1, s2, s1
	s_add_i32 s2, s2, s1
	s_mul_hi_u32 s1, s7, s2
	s_mul_i32 s2, s1, s16
	s_sub_i32 s2, s7, s2
	s_add_i32 s3, s1, 1
	s_sub_i32 s8, s2, s16
	s_cmp_ge_u32 s2, s16
	s_cselect_b32 s1, s3, s1
	s_cselect_b32 s2, s8, s2
	s_add_i32 s3, s1, 1
	s_cmp_ge_u32 s2, s16
	s_cselect_b32 s33, s3, s1
	s_abs_i32 s1, s20
	v_cvt_f32_u32_e32 v1, s1
	s_sub_i32 s8, 0, s1
	s_abs_i32 s3, s24
	s_xor_b32 s2, s24, s20
	v_rcp_iflag_f32_e32 v1, v1
	s_ashr_i32 s2, s2, 31
	v_mul_f32_e32 v1, 0x4f7ffffe, v1
	v_cvt_u32_f32_e32 v1, v1
	v_readfirstlane_b32 s9, v1
	s_mul_i32 s8, s8, s9
	s_mul_hi_u32 s8, s9, s8
	s_add_i32 s9, s9, s8
	s_mul_hi_u32 s8, s3, s9
	s_mul_i32 s9, s8, s1
	s_sub_i32 s3, s3, s9
	s_add_i32 s9, s8, 1
	s_sub_i32 s10, s3, s1
	s_cmp_ge_u32 s3, s1
	s_cselect_b32 s8, s9, s8
	s_cselect_b32 s3, s10, s3
	s_add_i32 s9, s8, 1
	s_cmp_ge_u32 s3, s1
	s_cselect_b32 s1, s9, s8
	s_xor_b32 s1, s1, s2
	s_sub_i32 s31, s1, s2
	s_abs_i32 s30, s31
	v_cvt_f32_u32_e32 v1, s30
	s_load_dword s1, s[4:5], 0x68
	v_rcp_iflag_f32_e32 v1, v1
	s_waitcnt lgkmcnt(0)
	s_cmp_ge_i32 s33, s1
	v_mul_f32_e32 v1, 0x4f7ffffe, v1
	v_cvt_u32_f32_e32 v1, v1
	v_readfirstlane_b32 s36, v1
	s_cbranch_scc1 .LBB37_28
; %bb.1:
	s_mul_i32 s1, s0, s18
	s_sub_i32 s18, s6, s1
	s_mul_i32 s1, s7, s17
	s_load_dwordx2 s[34:35], s[28:29], 0x0
	s_load_dwordx8 s[8:15], s[28:29], 0x24
	s_sub_i32 s20, s0, s1
	s_load_dwordx4 s[0:3], s[28:29], 0x44
	s_load_dword s6, s[4:5], 0xc4
	s_load_dword s47, s[4:5], 0x38
	s_mul_i32 s16, s33, s16
	v_lshrrev_b32_e32 v4, 6, v0
	s_sub_i32 s24, s7, s16
	s_waitcnt lgkmcnt(0)
	s_and_b32 s46, s6, 0xffff
	s_mul_i32 s47, s47, s25
	v_cmp_gt_i32_e32 vcc, s47, v4
	v_mov_b32_e32 v8, 0
	s_and_saveexec_b64 s[6:7], vcc
	s_cbranch_execz .LBB37_23
; %bb.2:
	s_sub_i32 s29, 0, s30
	s_mul_i32 s29, s29, s36
	s_mul_hi_u32 s29, s36, s29
	s_abs_i32 s28, s33
	s_add_i32 s36, s36, s29
	s_ashr_i32 s16, s33, 31
	s_ashr_i32 s17, s31, 31
	s_mul_hi_u32 s29, s28, s36
	s_xor_b32 s36, s16, s17
	s_mul_i32 s16, s29, s30
	s_sub_i32 s16, s28, s16
	s_lshr_b32 s48, s46, 6
	s_add_i32 s17, s29, 1
	s_sub_i32 s28, s16, s30
	s_cmp_ge_u32 s16, s30
	s_cselect_b32 s17, s17, s29
	s_cselect_b32 s16, s28, s16
	s_add_i32 s28, s17, 1
	s_cmp_ge_u32 s16, s30
	s_cselect_b32 s37, s28, s17
	s_abs_i32 s44, s25
	v_cvt_f32_u32_e32 v1, s44
	s_sub_i32 s16, 0, s44
	s_mul_i32 s1, s24, s1
	s_ashr_i32 s45, s25, 31
	v_rcp_iflag_f32_e32 v1, v1
	v_and_b32_e32 v8, 63, v0
	s_mul_i32 s3, s18, s3
	v_mov_b32_e32 v7, 0
	v_mul_f32_e32 v1, 0x4f7ffffe, v1
	v_cvt_u32_f32_e32 v1, v1
	v_lshlrev_b32_e32 v11, 2, v8
	v_mul_lo_u32 v2, s16, v1
	s_load_dwordx4 s[28:31], s[4:5], 0x1c
	s_load_dwordx2 s[16:17], s[4:5], 0x0
	v_mul_hi_u32 v2, v1, v2
	s_waitcnt lgkmcnt(0)
	s_mul_i32 s40, s29, s33
	s_sub_i32 s29, s1, s14
	s_xor_b32 s1, s37, s36
	s_sub_i32 s1, s1, s36
	s_load_dwordx2 s[42:43], s[4:5], 0x30
	s_load_dwordx4 s[36:39], s[4:5], 0x4c
	s_ashr_i32 s41, s40, 31
	s_lshl_b64 s[4:5], s[40:41], 2
	s_add_u32 s31, s16, s4
	s_waitcnt lgkmcnt(0)
	s_addc_u32 s39, s17, s5
	s_mul_i32 s4, s37, s1
	s_ashr_i32 s5, s4, 31
	s_lshl_b64 s[4:5], s[4:5], 2
	s_add_u32 s37, s42, s4
	s_addc_u32 s49, s43, s5
	s_abs_i32 s1, s27
	v_cvt_f32_u32_e32 v3, s1
	v_add_u32_e32 v1, v1, v2
	v_mul_hi_u32 v1, v4, v1
	s_sub_i32 s4, 0, s1
	v_rcp_iflag_f32_e32 v3, v3
	s_sub_i32 s50, s3, s0
	v_mul_lo_u32 v2, v1, s44
	v_add_u32_e32 v5, 1, v1
	v_mul_f32_e32 v3, 0x4f7ffffe, v3
	v_cvt_u32_f32_e32 v3, v3
	v_sub_u32_e32 v2, v4, v2
	v_cmp_le_u32_e32 vcc, s44, v2
	v_cndmask_b32_e32 v1, v1, v5, vcc
	v_subrev_u32_e32 v5, s44, v2
	v_cndmask_b32_e32 v2, v2, v5, vcc
	v_mul_lo_u32 v5, s4, v3
	v_cmp_le_u32_e32 vcc, s44, v2
	v_add_u32_e32 v6, 1, v1
	v_cndmask_b32_e32 v1, v1, v6, vcc
	v_mul_hi_u32 v2, v3, v5
	v_xor_b32_e32 v1, s45, v1
	v_subrev_u32_e32 v5, s45, v1
	v_mul_lo_u32 v1, v5, s25
	v_add_u32_e32 v2, v3, v2
	v_mul_hi_u32 v2, v8, v2
	s_ashr_i32 s0, s27, 31
	v_sub_u32_e32 v6, v4, v1
	v_mul_lo_u32 v1, v2, s1
	v_add_u32_e32 v3, 1, v2
	v_sub_u32_e32 v1, v8, v1
	v_cmp_le_u32_e32 vcc, s1, v1
	v_cndmask_b32_e32 v2, v2, v3, vcc
	v_subrev_u32_e32 v3, s1, v1
	v_cndmask_b32_e32 v1, v1, v3, vcc
	v_add_u32_e32 v3, 1, v2
	v_cmp_le_u32_e32 vcc, s1, v1
	v_cndmask_b32_e32 v1, v2, v3, vcc
	v_xor_b32_e32 v1, s0, v1
	v_subrev_u32_e32 v9, s0, v1
	v_mul_lo_u32 v1, v9, s27
	s_mul_i32 s0, s20, s2
	s_sub_i32 s51, s0, s15
	v_cmp_gt_i32_e64 s[0:1], s26, v9
	v_sub_u32_e32 v10, v8, v1
	s_mov_b64 s[14:15], 0
	v_mov_b32_e32 v8, 0
	s_branch .LBB37_6
.LBB37_3:                               ;   in Loop: Header=BB37_6 Depth=1
	s_or_b64 exec, exec, s[42:43]
.LBB37_4:                               ;   in Loop: Header=BB37_6 Depth=1
	s_or_b64 exec, exec, s[40:41]
.LBB37_5:                               ;   in Loop: Header=BB37_6 Depth=1
	s_or_b64 exec, exec, s[16:17]
	v_add_u32_e32 v4, s48, v4
	v_cmp_le_i32_e32 vcc, s47, v4
	s_or_b64 s[14:15], vcc, s[14:15]
	v_add_u32_e32 v6, s48, v6
	s_andn2_b64 exec, exec, s[14:15]
	s_cbranch_execz .LBB37_22
.LBB37_6:                               ; =>This Loop Header: Depth=1
                                        ;     Child Loop BB37_8 Depth 2
                                        ;     Child Loop BB37_14 Depth 2
                                        ;       Child Loop BB37_20 Depth 3
	v_cmp_le_i32_e32 vcc, s25, v6
	s_and_saveexec_b64 s[2:3], vcc
	s_cbranch_execz .LBB37_10
; %bb.7:                                ;   in Loop: Header=BB37_6 Depth=1
	s_mov_b64 s[4:5], 0
.LBB37_8:                               ;   Parent Loop BB37_6 Depth=1
                                        ; =>  This Inner Loop Header: Depth=2
	v_subrev_u32_e32 v6, s25, v6
	v_cmp_gt_i32_e32 vcc, s25, v6
	s_or_b64 s[4:5], vcc, s[4:5]
	v_add_u32_e32 v5, 1, v5
	s_andn2_b64 exec, exec, s[4:5]
	s_cbranch_execnz .LBB37_8
; %bb.9:                                ;   in Loop: Header=BB37_6 Depth=1
	s_or_b64 exec, exec, s[4:5]
.LBB37_10:                              ;   in Loop: Header=BB37_6 Depth=1
	s_or_b64 exec, exec, s[2:3]
	v_mul_lo_u32 v1, v6, s11
	v_add_u32_e32 v1, s29, v1
	v_cmp_lt_i32_e32 vcc, -1, v1
	v_cmp_gt_i32_e64 s[2:3], s21, v1
	s_and_b64 s[2:3], vcc, s[2:3]
	s_and_saveexec_b64 s[16:17], s[2:3]
	s_cbranch_execz .LBB37_5
; %bb.11:                               ;   in Loop: Header=BB37_6 Depth=1
	s_and_saveexec_b64 s[40:41], s[0:1]
	s_cbranch_execz .LBB37_4
; %bb.12:                               ;   in Loop: Header=BB37_6 Depth=1
	v_mul_lo_u32 v2, s36, v5
	v_mul_lo_u32 v1, s38, v1
	;; [unrolled: 1-line block ×3, first 2 shown]
	v_mov_b32_e32 v12, s49
	v_ashrrev_i32_e32 v3, 31, v2
	v_lshlrev_b64 v[2:3], 2, v[2:3]
	v_ashrrev_i32_e32 v15, 31, v14
	v_add_co_u32_e32 v13, vcc, s37, v2
	v_ashrrev_i32_e32 v2, 31, v1
	v_lshlrev_b64 v[1:2], 2, v[1:2]
	v_addc_co_u32_e32 v3, vcc, v12, v3, vcc
	v_add_co_u32_e32 v12, vcc, v13, v1
	v_addc_co_u32_e32 v13, vcc, v3, v2, vcc
	v_lshlrev_b64 v[1:2], 2, v[14:15]
	v_mul_lo_u32 v14, s30, v6
	v_mov_b32_e32 v3, s39
	v_add_co_u32_e32 v16, vcc, s31, v1
	v_ashrrev_i32_e32 v15, 31, v14
	v_addc_co_u32_e32 v3, vcc, v3, v2, vcc
	v_lshlrev_b64 v[1:2], 2, v[14:15]
	s_mov_b64 s[42:43], 0
	v_add_co_u32_e32 v1, vcc, v16, v1
	v_addc_co_u32_e32 v2, vcc, v3, v2, vcc
	v_add_co_u32_e32 v1, vcc, v1, v11
	v_addc_co_u32_e32 v2, vcc, 0, v2, vcc
	v_mov_b32_e32 v14, v10
	v_mov_b32_e32 v15, v9
	s_branch .LBB37_14
.LBB37_13:                              ;   in Loop: Header=BB37_14 Depth=2
	s_or_b64 exec, exec, s[2:3]
	v_add_co_u32_e32 v1, vcc, 0x100, v1
	v_addc_co_u32_e32 v2, vcc, 0, v2, vcc
	v_cmp_le_i32_e32 vcc, s26, v15
	s_or_b64 s[42:43], vcc, s[42:43]
	s_waitcnt vmcnt(0)
	v_fmac_f32_e32 v8, v16, v17
	s_andn2_b64 exec, exec, s[42:43]
	s_cbranch_execz .LBB37_3
.LBB37_14:                              ;   Parent Loop BB37_6 Depth=1
                                        ; =>  This Loop Header: Depth=2
                                        ;       Child Loop BB37_20 Depth 3
	global_load_dword v16, v[1:2], off
	v_mul_lo_u32 v3, v14, s13
	v_mov_b32_e32 v17, 0
	v_add_u32_e32 v3, s50, v3
	v_cmp_lt_i32_e32 vcc, -1, v3
	s_and_saveexec_b64 s[44:45], vcc
	s_cbranch_execz .LBB37_18
; %bb.15:                               ;   in Loop: Header=BB37_14 Depth=2
	v_mul_lo_u32 v17, v15, s12
	v_cmp_gt_i32_e32 vcc, s23, v3
	v_add_u32_e32 v18, s51, v17
	v_cmp_gt_i32_e64 s[4:5], s22, v18
	v_cmp_lt_i32_e64 s[2:3], -1, v18
	s_and_b64 s[4:5], vcc, s[4:5]
	s_and_b64 s[4:5], s[4:5], s[2:3]
	v_mov_b32_e32 v17, 0
	s_and_saveexec_b64 s[2:3], s[4:5]
	s_cbranch_execz .LBB37_17
; %bb.16:                               ;   in Loop: Header=BB37_14 Depth=2
	v_mad_u64_u32 v[17:18], s[4:5], v18, s23, v[3:4]
	v_mov_b32_e32 v18, v7
	v_lshlrev_b64 v[17:18], 2, v[17:18]
	v_add_co_u32_e32 v17, vcc, v12, v17
	v_addc_co_u32_e32 v18, vcc, v13, v18, vcc
	global_load_dword v17, v[17:18], off
.LBB37_17:                              ;   in Loop: Header=BB37_14 Depth=2
	s_or_b64 exec, exec, s[2:3]
.LBB37_18:                              ;   in Loop: Header=BB37_14 Depth=2
	s_or_b64 exec, exec, s[44:45]
	v_add_u32_e32 v14, 64, v14
	v_cmp_le_i32_e32 vcc, s27, v14
	s_and_saveexec_b64 s[2:3], vcc
	s_cbranch_execz .LBB37_13
; %bb.19:                               ;   in Loop: Header=BB37_14 Depth=2
	s_mov_b64 s[4:5], 0
.LBB37_20:                              ;   Parent Loop BB37_6 Depth=1
                                        ;     Parent Loop BB37_14 Depth=2
                                        ; =>    This Inner Loop Header: Depth=3
	v_subrev_u32_e32 v14, s27, v14
	v_cmp_gt_i32_e32 vcc, s27, v14
	s_or_b64 s[4:5], vcc, s[4:5]
	v_add_u32_e32 v15, 1, v15
	s_andn2_b64 exec, exec, s[4:5]
	s_cbranch_execnz .LBB37_20
; %bb.21:                               ;   in Loop: Header=BB37_14 Depth=2
	s_or_b64 exec, exec, s[4:5]
	s_branch .LBB37_13
.LBB37_22:
	s_or_b64 exec, exec, s[14:15]
.LBB37_23:
	s_or_b64 exec, exec, s[6:7]
	s_bcnt1_i32_b32 s0, s46
	v_lshl_add_u32 v1, v0, 2, 0
	s_cmp_lg_u32 s0, 1
	s_mov_b64 s[0:1], -1
	ds_write_b32 v1, v8
	s_waitcnt lgkmcnt(0)
	s_barrier
	s_cbranch_scc1 .LBB37_32
; %bb.24:
	s_andn2_b64 vcc, exec, s[0:1]
	s_cbranch_vccnz .LBB37_28
.LBB37_25:
	s_cmp_lt_u32 s46, 2
	s_cbranch_scc0 .LBB37_30
.LBB37_26:
	v_cmp_eq_u32_e32 vcc, 0, v0
	s_and_saveexec_b64 s[0:1], vcc
	s_cbranch_execz .LBB37_28
; %bb.27:
	s_mul_i32 s0, s19, s33
	s_ashr_i32 s1, s0, 31
	s_lshl_b64 s[0:1], s[0:1], 2
	s_add_u32 s2, s34, s0
	s_mul_i32 s0, s8, s24
	s_addc_u32 s3, s35, s1
	s_ashr_i32 s1, s0, 31
	s_lshl_b64 s[0:1], s[0:1], 2
	s_add_u32 s2, s2, s0
	s_mul_i32 s0, s9, s20
	s_addc_u32 s3, s3, s1
	s_ashr_i32 s1, s0, 31
	s_lshl_b64 s[0:1], s[0:1], 2
	v_mov_b32_e32 v0, 0
	s_add_u32 s2, s2, s0
	s_mul_i32 s0, s10, s18
	ds_read_b32 v1, v0
	s_addc_u32 s3, s3, s1
	s_ashr_i32 s1, s0, 31
	s_lshl_b64 s[0:1], s[0:1], 2
	s_add_u32 s0, s2, s0
	s_addc_u32 s1, s3, s1
	s_waitcnt lgkmcnt(0)
	global_store_dword v0, v1, s[0:1]
.LBB37_28:
	s_endpgm
.LBB37_29:                              ;   in Loop: Header=BB37_30 Depth=1
	s_or_b64 exec, exec, s[0:1]
	s_cmp_lt_u32 s46, 4
	s_mov_b32 s46, s2
	s_waitcnt lgkmcnt(0)
	s_barrier
	s_cbranch_scc1 .LBB37_26
.LBB37_30:                              ; =>This Inner Loop Header: Depth=1
	s_lshr_b32 s2, s46, 1
	v_cmp_gt_u32_e32 vcc, s2, v0
	s_and_saveexec_b64 s[0:1], vcc
	s_cbranch_execz .LBB37_29
; %bb.31:                               ;   in Loop: Header=BB37_30 Depth=1
	v_lshl_add_u32 v2, s2, 2, v1
	ds_read_b32 v2, v2
	ds_read_b32 v3, v1
	s_waitcnt lgkmcnt(0)
	v_add_f32_e32 v2, v2, v3
	ds_write_b32 v1, v2
	s_branch .LBB37_29
.LBB37_32:
	s_trap 2
	; divergent unreachable
	s_cbranch_execz .LBB37_25
	s_branch .LBB37_28
	.section	.rodata,"a",@progbits
	.p2align	6, 0x0
	.amdhsa_kernel _ZN2at6native12_GLOBAL__N_144conv_depthwise3d_cuda_backward_weight_kernelIffLin1ELin1EEEvN5torch10headeronly6detail27GenericPackedTensorAccessorINS5_14TensorAccessorIN3c108ArrayRefIlEEKT_Lm4ENS4_16DefaultPtrTraitsEiEENS_6detail16IndexBoundsCheckILm5EiEESC_Lm5ESD_iEESI_NS6_INS7_ISA_SB_Lm4ESD_iEESH_SB_Lm5ESD_iEEiiiiiiiii
		.amdhsa_group_segment_fixed_size 0
		.amdhsa_private_segment_fixed_size 0
		.amdhsa_kernarg_size 440
		.amdhsa_user_sgpr_count 6
		.amdhsa_user_sgpr_private_segment_buffer 1
		.amdhsa_user_sgpr_dispatch_ptr 0
		.amdhsa_user_sgpr_queue_ptr 0
		.amdhsa_user_sgpr_kernarg_segment_ptr 1
		.amdhsa_user_sgpr_dispatch_id 0
		.amdhsa_user_sgpr_flat_scratch_init 0
		.amdhsa_user_sgpr_private_segment_size 0
		.amdhsa_uses_dynamic_stack 0
		.amdhsa_system_sgpr_private_segment_wavefront_offset 0
		.amdhsa_system_sgpr_workgroup_id_x 1
		.amdhsa_system_sgpr_workgroup_id_y 0
		.amdhsa_system_sgpr_workgroup_id_z 0
		.amdhsa_system_sgpr_workgroup_info 0
		.amdhsa_system_vgpr_workitem_id 0
		.amdhsa_next_free_vgpr 19
		.amdhsa_next_free_sgpr 52
		.amdhsa_reserve_vcc 1
		.amdhsa_reserve_flat_scratch 0
		.amdhsa_float_round_mode_32 0
		.amdhsa_float_round_mode_16_64 0
		.amdhsa_float_denorm_mode_32 3
		.amdhsa_float_denorm_mode_16_64 3
		.amdhsa_dx10_clamp 1
		.amdhsa_ieee_mode 1
		.amdhsa_fp16_overflow 0
		.amdhsa_exception_fp_ieee_invalid_op 0
		.amdhsa_exception_fp_denorm_src 0
		.amdhsa_exception_fp_ieee_div_zero 0
		.amdhsa_exception_fp_ieee_overflow 0
		.amdhsa_exception_fp_ieee_underflow 0
		.amdhsa_exception_fp_ieee_inexact 0
		.amdhsa_exception_int_div_zero 0
	.end_amdhsa_kernel
	.section	.text._ZN2at6native12_GLOBAL__N_144conv_depthwise3d_cuda_backward_weight_kernelIffLin1ELin1EEEvN5torch10headeronly6detail27GenericPackedTensorAccessorINS5_14TensorAccessorIN3c108ArrayRefIlEEKT_Lm4ENS4_16DefaultPtrTraitsEiEENS_6detail16IndexBoundsCheckILm5EiEESC_Lm5ESD_iEESI_NS6_INS7_ISA_SB_Lm4ESD_iEESH_SB_Lm5ESD_iEEiiiiiiiii,"axG",@progbits,_ZN2at6native12_GLOBAL__N_144conv_depthwise3d_cuda_backward_weight_kernelIffLin1ELin1EEEvN5torch10headeronly6detail27GenericPackedTensorAccessorINS5_14TensorAccessorIN3c108ArrayRefIlEEKT_Lm4ENS4_16DefaultPtrTraitsEiEENS_6detail16IndexBoundsCheckILm5EiEESC_Lm5ESD_iEESI_NS6_INS7_ISA_SB_Lm4ESD_iEESH_SB_Lm5ESD_iEEiiiiiiiii,comdat
.Lfunc_end37:
	.size	_ZN2at6native12_GLOBAL__N_144conv_depthwise3d_cuda_backward_weight_kernelIffLin1ELin1EEEvN5torch10headeronly6detail27GenericPackedTensorAccessorINS5_14TensorAccessorIN3c108ArrayRefIlEEKT_Lm4ENS4_16DefaultPtrTraitsEiEENS_6detail16IndexBoundsCheckILm5EiEESC_Lm5ESD_iEESI_NS6_INS7_ISA_SB_Lm4ESD_iEESH_SB_Lm5ESD_iEEiiiiiiiii, .Lfunc_end37-_ZN2at6native12_GLOBAL__N_144conv_depthwise3d_cuda_backward_weight_kernelIffLin1ELin1EEEvN5torch10headeronly6detail27GenericPackedTensorAccessorINS5_14TensorAccessorIN3c108ArrayRefIlEEKT_Lm4ENS4_16DefaultPtrTraitsEiEENS_6detail16IndexBoundsCheckILm5EiEESC_Lm5ESD_iEESI_NS6_INS7_ISA_SB_Lm4ESD_iEESH_SB_Lm5ESD_iEEiiiiiiiii
                                        ; -- End function
	.set _ZN2at6native12_GLOBAL__N_144conv_depthwise3d_cuda_backward_weight_kernelIffLin1ELin1EEEvN5torch10headeronly6detail27GenericPackedTensorAccessorINS5_14TensorAccessorIN3c108ArrayRefIlEEKT_Lm4ENS4_16DefaultPtrTraitsEiEENS_6detail16IndexBoundsCheckILm5EiEESC_Lm5ESD_iEESI_NS6_INS7_ISA_SB_Lm4ESD_iEESH_SB_Lm5ESD_iEEiiiiiiiii.num_vgpr, 19
	.set _ZN2at6native12_GLOBAL__N_144conv_depthwise3d_cuda_backward_weight_kernelIffLin1ELin1EEEvN5torch10headeronly6detail27GenericPackedTensorAccessorINS5_14TensorAccessorIN3c108ArrayRefIlEEKT_Lm4ENS4_16DefaultPtrTraitsEiEENS_6detail16IndexBoundsCheckILm5EiEESC_Lm5ESD_iEESI_NS6_INS7_ISA_SB_Lm4ESD_iEESH_SB_Lm5ESD_iEEiiiiiiiii.num_agpr, 0
	.set _ZN2at6native12_GLOBAL__N_144conv_depthwise3d_cuda_backward_weight_kernelIffLin1ELin1EEEvN5torch10headeronly6detail27GenericPackedTensorAccessorINS5_14TensorAccessorIN3c108ArrayRefIlEEKT_Lm4ENS4_16DefaultPtrTraitsEiEENS_6detail16IndexBoundsCheckILm5EiEESC_Lm5ESD_iEESI_NS6_INS7_ISA_SB_Lm4ESD_iEESH_SB_Lm5ESD_iEEiiiiiiiii.numbered_sgpr, 52
	.set _ZN2at6native12_GLOBAL__N_144conv_depthwise3d_cuda_backward_weight_kernelIffLin1ELin1EEEvN5torch10headeronly6detail27GenericPackedTensorAccessorINS5_14TensorAccessorIN3c108ArrayRefIlEEKT_Lm4ENS4_16DefaultPtrTraitsEiEENS_6detail16IndexBoundsCheckILm5EiEESC_Lm5ESD_iEESI_NS6_INS7_ISA_SB_Lm4ESD_iEESH_SB_Lm5ESD_iEEiiiiiiiii.num_named_barrier, 0
	.set _ZN2at6native12_GLOBAL__N_144conv_depthwise3d_cuda_backward_weight_kernelIffLin1ELin1EEEvN5torch10headeronly6detail27GenericPackedTensorAccessorINS5_14TensorAccessorIN3c108ArrayRefIlEEKT_Lm4ENS4_16DefaultPtrTraitsEiEENS_6detail16IndexBoundsCheckILm5EiEESC_Lm5ESD_iEESI_NS6_INS7_ISA_SB_Lm4ESD_iEESH_SB_Lm5ESD_iEEiiiiiiiii.private_seg_size, 0
	.set _ZN2at6native12_GLOBAL__N_144conv_depthwise3d_cuda_backward_weight_kernelIffLin1ELin1EEEvN5torch10headeronly6detail27GenericPackedTensorAccessorINS5_14TensorAccessorIN3c108ArrayRefIlEEKT_Lm4ENS4_16DefaultPtrTraitsEiEENS_6detail16IndexBoundsCheckILm5EiEESC_Lm5ESD_iEESI_NS6_INS7_ISA_SB_Lm4ESD_iEESH_SB_Lm5ESD_iEEiiiiiiiii.uses_vcc, 1
	.set _ZN2at6native12_GLOBAL__N_144conv_depthwise3d_cuda_backward_weight_kernelIffLin1ELin1EEEvN5torch10headeronly6detail27GenericPackedTensorAccessorINS5_14TensorAccessorIN3c108ArrayRefIlEEKT_Lm4ENS4_16DefaultPtrTraitsEiEENS_6detail16IndexBoundsCheckILm5EiEESC_Lm5ESD_iEESI_NS6_INS7_ISA_SB_Lm4ESD_iEESH_SB_Lm5ESD_iEEiiiiiiiii.uses_flat_scratch, 0
	.set _ZN2at6native12_GLOBAL__N_144conv_depthwise3d_cuda_backward_weight_kernelIffLin1ELin1EEEvN5torch10headeronly6detail27GenericPackedTensorAccessorINS5_14TensorAccessorIN3c108ArrayRefIlEEKT_Lm4ENS4_16DefaultPtrTraitsEiEENS_6detail16IndexBoundsCheckILm5EiEESC_Lm5ESD_iEESI_NS6_INS7_ISA_SB_Lm4ESD_iEESH_SB_Lm5ESD_iEEiiiiiiiii.has_dyn_sized_stack, 0
	.set _ZN2at6native12_GLOBAL__N_144conv_depthwise3d_cuda_backward_weight_kernelIffLin1ELin1EEEvN5torch10headeronly6detail27GenericPackedTensorAccessorINS5_14TensorAccessorIN3c108ArrayRefIlEEKT_Lm4ENS4_16DefaultPtrTraitsEiEENS_6detail16IndexBoundsCheckILm5EiEESC_Lm5ESD_iEESI_NS6_INS7_ISA_SB_Lm4ESD_iEESH_SB_Lm5ESD_iEEiiiiiiiii.has_recursion, 0
	.set _ZN2at6native12_GLOBAL__N_144conv_depthwise3d_cuda_backward_weight_kernelIffLin1ELin1EEEvN5torch10headeronly6detail27GenericPackedTensorAccessorINS5_14TensorAccessorIN3c108ArrayRefIlEEKT_Lm4ENS4_16DefaultPtrTraitsEiEENS_6detail16IndexBoundsCheckILm5EiEESC_Lm5ESD_iEESI_NS6_INS7_ISA_SB_Lm4ESD_iEESH_SB_Lm5ESD_iEEiiiiiiiii.has_indirect_call, 0
	.section	.AMDGPU.csdata,"",@progbits
; Kernel info:
; codeLenInByte = 1796
; TotalNumSgprs: 56
; NumVgprs: 19
; ScratchSize: 0
; MemoryBound: 0
; FloatMode: 240
; IeeeMode: 1
; LDSByteSize: 0 bytes/workgroup (compile time only)
; SGPRBlocks: 6
; VGPRBlocks: 4
; NumSGPRsForWavesPerEU: 56
; NumVGPRsForWavesPerEU: 19
; Occupancy: 10
; WaveLimiterHint : 1
; COMPUTE_PGM_RSRC2:SCRATCH_EN: 0
; COMPUTE_PGM_RSRC2:USER_SGPR: 6
; COMPUTE_PGM_RSRC2:TRAP_HANDLER: 0
; COMPUTE_PGM_RSRC2:TGID_X_EN: 1
; COMPUTE_PGM_RSRC2:TGID_Y_EN: 0
; COMPUTE_PGM_RSRC2:TGID_Z_EN: 0
; COMPUTE_PGM_RSRC2:TIDIG_COMP_CNT: 0
	.section	.text._ZN2at6native12_GLOBAL__N_144conv_depthwise3d_cuda_backward_weight_kernelIN3c104HalfEfLi1ELi1EEEvN5torch10headeronly6detail27GenericPackedTensorAccessorINS7_14TensorAccessorINS3_8ArrayRefIlEEKT_Lm4ENS6_16DefaultPtrTraitsEiEENS_6detail16IndexBoundsCheckILm5EiEESD_Lm5ESE_iEESJ_NS8_INS9_ISB_SC_Lm4ESE_iEESI_SC_Lm5ESE_iEEiiiiiiiii,"axG",@progbits,_ZN2at6native12_GLOBAL__N_144conv_depthwise3d_cuda_backward_weight_kernelIN3c104HalfEfLi1ELi1EEEvN5torch10headeronly6detail27GenericPackedTensorAccessorINS7_14TensorAccessorINS3_8ArrayRefIlEEKT_Lm4ENS6_16DefaultPtrTraitsEiEENS_6detail16IndexBoundsCheckILm5EiEESD_Lm5ESE_iEESJ_NS8_INS9_ISB_SC_Lm4ESE_iEESI_SC_Lm5ESE_iEEiiiiiiiii,comdat
	.globl	_ZN2at6native12_GLOBAL__N_144conv_depthwise3d_cuda_backward_weight_kernelIN3c104HalfEfLi1ELi1EEEvN5torch10headeronly6detail27GenericPackedTensorAccessorINS7_14TensorAccessorINS3_8ArrayRefIlEEKT_Lm4ENS6_16DefaultPtrTraitsEiEENS_6detail16IndexBoundsCheckILm5EiEESD_Lm5ESE_iEESJ_NS8_INS9_ISB_SC_Lm4ESE_iEESI_SC_Lm5ESE_iEEiiiiiiiii ; -- Begin function _ZN2at6native12_GLOBAL__N_144conv_depthwise3d_cuda_backward_weight_kernelIN3c104HalfEfLi1ELi1EEEvN5torch10headeronly6detail27GenericPackedTensorAccessorINS7_14TensorAccessorINS3_8ArrayRefIlEEKT_Lm4ENS6_16DefaultPtrTraitsEiEENS_6detail16IndexBoundsCheckILm5EiEESD_Lm5ESE_iEESJ_NS8_INS9_ISB_SC_Lm4ESE_iEESI_SC_Lm5ESE_iEEiiiiiiiii
	.p2align	8
	.type	_ZN2at6native12_GLOBAL__N_144conv_depthwise3d_cuda_backward_weight_kernelIN3c104HalfEfLi1ELi1EEEvN5torch10headeronly6detail27GenericPackedTensorAccessorINS7_14TensorAccessorINS3_8ArrayRefIlEEKT_Lm4ENS6_16DefaultPtrTraitsEiEENS_6detail16IndexBoundsCheckILm5EiEESD_Lm5ESE_iEESJ_NS8_INS9_ISB_SC_Lm4ESE_iEESI_SC_Lm5ESE_iEEiiiiiiiii,@function
_ZN2at6native12_GLOBAL__N_144conv_depthwise3d_cuda_backward_weight_kernelIN3c104HalfEfLi1ELi1EEEvN5torch10headeronly6detail27GenericPackedTensorAccessorINS7_14TensorAccessorINS3_8ArrayRefIlEEKT_Lm4ENS6_16DefaultPtrTraitsEiEENS_6detail16IndexBoundsCheckILm5EiEESD_Lm5ESE_iEESJ_NS8_INS9_ISB_SC_Lm4ESE_iEESI_SC_Lm5ESE_iEEiiiiiiiii: ; @_ZN2at6native12_GLOBAL__N_144conv_depthwise3d_cuda_backward_weight_kernelIN3c104HalfEfLi1ELi1EEEvN5torch10headeronly6detail27GenericPackedTensorAccessorINS7_14TensorAccessorINS3_8ArrayRefIlEEKT_Lm4ENS6_16DefaultPtrTraitsEiEENS_6detail16IndexBoundsCheckILm5EiEESD_Lm5ESE_iEESJ_NS8_INS9_ISB_SC_Lm4ESE_iEESI_SC_Lm5ESE_iEEiiiiiiiii
; %bb.0:
	s_load_dwordx4 s[8:11], s[4:5], 0x70
	s_add_u32 s0, s4, 0x60
	s_addc_u32 s1, s5, 0
	s_load_dwordx4 s[16:19], s[4:5], 0x3c
	s_load_dwordx4 s[20:23], s[4:5], 0xc
	s_waitcnt lgkmcnt(0)
	v_cvt_f32_u32_e32 v1, s10
	v_cvt_f32_u32_e32 v2, s9
	s_sub_i32 s2, 0, s10
	v_rcp_iflag_f32_e32 v1, v1
	v_rcp_iflag_f32_e32 v2, v2
	v_mul_f32_e32 v1, 0x4f7ffffe, v1
	v_cvt_u32_f32_e32 v1, v1
	v_mul_f32_e32 v2, 0x4f7ffffe, v2
	v_cvt_u32_f32_e32 v2, v2
	v_readfirstlane_b32 s3, v1
	s_mul_i32 s2, s2, s3
	s_mul_hi_u32 s2, s3, s2
	s_add_i32 s3, s3, s2
	s_mul_hi_u32 s2, s6, s3
	s_mul_i32 s3, s2, s10
	s_sub_i32 s3, s6, s3
	s_add_i32 s12, s2, 1
	s_sub_i32 s13, s3, s10
	s_cmp_ge_u32 s3, s10
	s_cselect_b32 s2, s12, s2
	s_cselect_b32 s3, s13, s3
	s_add_i32 s12, s2, 1
	s_cmp_ge_u32 s3, s10
	v_cvt_f32_u32_e32 v1, s8
	v_readfirstlane_b32 s7, v2
	s_cselect_b32 s2, s12, s2
	s_sub_i32 s3, 0, s9
	s_mul_i32 s3, s3, s7
	s_mul_hi_u32 s3, s7, s3
	s_add_i32 s7, s7, s3
	v_rcp_iflag_f32_e32 v1, v1
	s_mul_hi_u32 s3, s2, s7
	s_mul_i32 s7, s3, s9
	s_sub_i32 s7, s2, s7
	s_add_i32 s12, s3, 1
	s_sub_i32 s13, s7, s9
	v_mul_f32_e32 v1, 0x4f7ffffe, v1
	s_cmp_ge_u32 s7, s9
	v_cvt_u32_f32_e32 v1, v1
	s_cselect_b32 s3, s12, s3
	s_cselect_b32 s7, s13, s7
	s_add_i32 s12, s3, 1
	s_cmp_ge_u32 s7, s9
	s_cselect_b32 s3, s12, s3
	s_sub_i32 s7, 0, s8
	v_readfirstlane_b32 s12, v1
	s_mul_i32 s7, s7, s12
	s_mul_hi_u32 s7, s12, s7
	s_add_i32 s12, s12, s7
	s_mul_hi_u32 s7, s3, s12
	s_mul_i32 s12, s7, s8
	s_sub_i32 s12, s3, s12
	s_add_i32 s13, s7, 1
	s_sub_i32 s14, s12, s8
	s_cmp_ge_u32 s12, s8
	s_cselect_b32 s7, s13, s7
	s_cselect_b32 s12, s14, s12
	s_add_i32 s13, s7, 1
	s_cmp_ge_u32 s12, s8
	s_cselect_b32 s33, s13, s7
	s_abs_i32 s7, s16
	v_cvt_f32_u32_e32 v1, s7
	s_sub_i32 s14, 0, s7
	s_abs_i32 s13, s20
	s_xor_b32 s12, s20, s16
	v_rcp_iflag_f32_e32 v1, v1
	s_ashr_i32 s12, s12, 31
	v_mul_f32_e32 v1, 0x4f7ffffe, v1
	v_cvt_u32_f32_e32 v1, v1
	v_readfirstlane_b32 s15, v1
	s_mul_i32 s14, s14, s15
	s_mul_hi_u32 s14, s15, s14
	s_add_i32 s15, s15, s14
	s_mul_hi_u32 s14, s13, s15
	s_mul_i32 s15, s14, s7
	s_sub_i32 s13, s13, s15
	s_add_i32 s15, s14, 1
	s_sub_i32 s16, s13, s7
	s_cmp_ge_u32 s13, s7
	s_cselect_b32 s14, s15, s14
	s_cselect_b32 s13, s16, s13
	s_add_i32 s15, s14, 1
	s_cmp_ge_u32 s13, s7
	s_cselect_b32 s7, s15, s14
	s_xor_b32 s7, s7, s12
	s_sub_i32 s25, s7, s12
	s_abs_i32 s24, s25
	v_cvt_f32_u32_e32 v1, s24
	s_load_dword s7, s[4:5], 0x68
	v_rcp_iflag_f32_e32 v1, v1
	s_waitcnt lgkmcnt(0)
	s_cmp_ge_i32 s33, s7
	v_mul_f32_e32 v1, 0x4f7ffffe, v1
	v_cvt_u32_f32_e32 v1, v1
	v_readfirstlane_b32 s26, v1
	s_cbranch_scc1 .LBB38_28
; %bb.1:
	s_load_dwordx2 s[34:35], s[0:1], 0x0
	s_load_dwordx4 s[12:15], s[0:1], 0x24
	s_mul_i32 s0, s2, s10
	s_sub_i32 s10, s6, s0
	s_mul_i32 s0, s3, s9
	s_sub_i32 s16, s2, s0
	s_load_dword s0, s[4:5], 0xc4
	s_load_dword s45, s[4:5], 0x38
	s_mul_i32 s1, s33, s8
	v_lshrrev_b32_e32 v4, 6, v0
	s_sub_i32 s20, s3, s1
	s_waitcnt lgkmcnt(0)
	s_and_b32 s44, s0, 0xffff
	s_mul_i32 s45, s45, s21
	v_cmp_gt_i32_e32 vcc, s45, v4
	v_mov_b32_e32 v2, 0
	s_and_saveexec_b64 s[6:7], vcc
	s_cbranch_execz .LBB38_23
; %bb.2:
	s_sub_i32 s3, 0, s24
	s_mul_i32 s3, s3, s26
	s_mul_hi_u32 s3, s26, s3
	s_abs_i32 s2, s33
	s_add_i32 s26, s26, s3
	s_ashr_i32 s0, s33, 31
	s_ashr_i32 s1, s25, 31
	s_mul_hi_u32 s3, s2, s26
	s_xor_b32 s28, s0, s1
	s_mul_i32 s0, s3, s24
	s_sub_i32 s0, s2, s0
	s_lshr_b32 s46, s44, 6
	s_add_i32 s1, s3, 1
	s_sub_i32 s2, s0, s24
	s_cmp_ge_u32 s0, s24
	s_cselect_b32 s1, s1, s3
	s_cselect_b32 s0, s2, s0
	s_add_i32 s2, s1, 1
	s_cmp_ge_u32 s0, s24
	s_cselect_b32 s29, s2, s1
	s_abs_i32 s42, s21
	v_cvt_f32_u32_e32 v1, s42
	s_sub_i32 s0, 0, s42
	s_ashr_i32 s43, s21, 31
	v_and_b32_e32 v10, 63, v0
	v_rcp_iflag_f32_e32 v1, v1
	v_mov_b32_e32 v7, 0
	v_lshlrev_b32_e32 v11, 1, v10
	v_mul_f32_e32 v1, 0x4f7ffffe, v1
	v_cvt_u32_f32_e32 v1, v1
	v_mul_lo_u32 v2, s0, v1
	s_load_dwordx4 s[0:3], s[4:5], 0x9c
	s_load_dwordx2 s[8:9], s[4:5], 0xac
	s_load_dwordx2 s[36:37], s[4:5], 0x0
	s_load_dwordx4 s[24:27], s[4:5], 0x1c
	v_mul_hi_u32 v2, v1, v2
	s_waitcnt lgkmcnt(0)
	s_mul_i32 s3, s20, s3
	s_sub_i32 s27, s3, s0
	s_xor_b32 s0, s29, s28
	s_sub_i32 s0, s0, s28
	s_load_dwordx2 s[40:41], s[4:5], 0x30
	s_load_dwordx4 s[28:31], s[4:5], 0x4c
	s_mul_i32 s38, s25, s33
	s_ashr_i32 s39, s38, 31
	s_lshl_b64 s[4:5], s[38:39], 1
	s_add_u32 s25, s36, s4
	s_waitcnt lgkmcnt(0)
	s_mul_i32 s4, s29, s0
	s_addc_u32 s31, s37, s5
	s_ashr_i32 s5, s4, 31
	s_lshl_b64 s[4:5], s[4:5], 1
	s_add_u32 s29, s40, s4
	s_addc_u32 s47, s41, s5
	s_abs_i32 s0, s23
	v_cvt_f32_u32_e32 v3, s0
	v_add_u32_e32 v1, v1, v2
	v_mul_hi_u32 v1, v4, v1
	s_sub_i32 s3, 0, s0
	v_rcp_iflag_f32_e32 v3, v3
	v_mul_lo_u32 v2, v1, s42
	v_add_u32_e32 v5, 1, v1
	v_mul_f32_e32 v3, 0x4f7ffffe, v3
	v_cvt_u32_f32_e32 v3, v3
	v_sub_u32_e32 v2, v4, v2
	v_cmp_le_u32_e32 vcc, s42, v2
	v_cndmask_b32_e32 v1, v1, v5, vcc
	v_subrev_u32_e32 v5, s42, v2
	v_cndmask_b32_e32 v2, v2, v5, vcc
	v_mul_lo_u32 v5, s3, v3
	v_cmp_le_u32_e32 vcc, s42, v2
	v_add_u32_e32 v6, 1, v1
	v_cndmask_b32_e32 v1, v1, v6, vcc
	v_mul_hi_u32 v2, v3, v5
	v_xor_b32_e32 v1, s43, v1
	v_subrev_u32_e32 v5, s43, v1
	v_mul_lo_u32 v1, v5, s21
	v_add_u32_e32 v2, v3, v2
	v_mul_hi_u32 v2, v10, v2
	s_mul_i32 s3, s10, s9
	v_sub_u32_e32 v6, v4, v1
	s_sub_i32 s48, s3, s2
	v_mul_lo_u32 v1, v2, s0
	v_add_u32_e32 v3, 1, v2
	s_ashr_i32 s2, s23, 31
	v_sub_u32_e32 v1, v10, v1
	v_cmp_le_u32_e32 vcc, s0, v1
	v_cndmask_b32_e32 v2, v2, v3, vcc
	v_subrev_u32_e32 v3, s0, v1
	v_cndmask_b32_e32 v1, v1, v3, vcc
	v_add_u32_e32 v3, 1, v2
	v_cmp_le_u32_e32 vcc, s0, v1
	v_cndmask_b32_e32 v1, v2, v3, vcc
	v_xor_b32_e32 v1, s2, v1
	v_subrev_u32_e32 v8, s2, v1
	v_mul_lo_u32 v1, v8, s23
	s_mul_i32 s0, s16, s8
	s_sub_i32 s49, s0, s1
	v_cmp_gt_i32_e64 s[0:1], s22, v8
	v_sub_u32_e32 v9, v10, v1
	s_mov_b64 s[8:9], 0
	v_mov_b32_e32 v10, 0
	s_branch .LBB38_6
.LBB38_3:                               ;   in Loop: Header=BB38_6 Depth=1
	s_or_b64 exec, exec, s[40:41]
.LBB38_4:                               ;   in Loop: Header=BB38_6 Depth=1
	s_or_b64 exec, exec, s[38:39]
.LBB38_5:                               ;   in Loop: Header=BB38_6 Depth=1
	s_or_b64 exec, exec, s[36:37]
	v_add_u32_e32 v4, s46, v4
	v_cmp_le_i32_e32 vcc, s45, v4
	s_or_b64 s[8:9], vcc, s[8:9]
	v_add_u32_e32 v6, s46, v6
	s_andn2_b64 exec, exec, s[8:9]
	s_cbranch_execz .LBB38_22
.LBB38_6:                               ; =>This Loop Header: Depth=1
                                        ;     Child Loop BB38_8 Depth 2
                                        ;     Child Loop BB38_14 Depth 2
                                        ;       Child Loop BB38_20 Depth 3
	v_cmp_le_i32_e32 vcc, s21, v6
	s_and_saveexec_b64 s[2:3], vcc
	s_cbranch_execz .LBB38_10
; %bb.7:                                ;   in Loop: Header=BB38_6 Depth=1
	s_mov_b64 s[4:5], 0
.LBB38_8:                               ;   Parent Loop BB38_6 Depth=1
                                        ; =>  This Inner Loop Header: Depth=2
	v_subrev_u32_e32 v6, s21, v6
	v_cmp_gt_i32_e32 vcc, s21, v6
	s_or_b64 s[4:5], vcc, s[4:5]
	v_add_u32_e32 v5, 1, v5
	s_andn2_b64 exec, exec, s[4:5]
	s_cbranch_execnz .LBB38_8
; %bb.9:                                ;   in Loop: Header=BB38_6 Depth=1
	s_or_b64 exec, exec, s[4:5]
.LBB38_10:                              ;   in Loop: Header=BB38_6 Depth=1
	s_or_b64 exec, exec, s[2:3]
	v_mul_lo_u32 v1, v6, s15
	v_add_u32_e32 v1, s27, v1
	v_cmp_lt_i32_e32 vcc, -1, v1
	v_cmp_gt_i32_e64 s[2:3], s17, v1
	s_and_b64 s[2:3], vcc, s[2:3]
	s_and_saveexec_b64 s[36:37], s[2:3]
	s_cbranch_execz .LBB38_5
; %bb.11:                               ;   in Loop: Header=BB38_6 Depth=1
	s_and_saveexec_b64 s[38:39], s[0:1]
	s_cbranch_execz .LBB38_4
; %bb.12:                               ;   in Loop: Header=BB38_6 Depth=1
	v_mul_lo_u32 v2, s28, v5
	v_mul_lo_u32 v1, s30, v1
	;; [unrolled: 1-line block ×3, first 2 shown]
	v_mov_b32_e32 v12, s47
	v_ashrrev_i32_e32 v3, 31, v2
	v_lshlrev_b64 v[2:3], 1, v[2:3]
	v_ashrrev_i32_e32 v15, 31, v14
	v_add_co_u32_e32 v13, vcc, s29, v2
	v_ashrrev_i32_e32 v2, 31, v1
	v_lshlrev_b64 v[1:2], 1, v[1:2]
	v_addc_co_u32_e32 v3, vcc, v12, v3, vcc
	v_add_co_u32_e32 v12, vcc, v13, v1
	v_addc_co_u32_e32 v13, vcc, v3, v2, vcc
	v_lshlrev_b64 v[1:2], 1, v[14:15]
	v_mul_lo_u32 v14, s26, v6
	v_mov_b32_e32 v3, s31
	v_add_co_u32_e32 v16, vcc, s25, v1
	v_ashrrev_i32_e32 v15, 31, v14
	v_addc_co_u32_e32 v3, vcc, v3, v2, vcc
	v_lshlrev_b64 v[1:2], 1, v[14:15]
	s_mov_b64 s[40:41], 0
	v_add_co_u32_e32 v1, vcc, v16, v1
	v_addc_co_u32_e32 v2, vcc, v3, v2, vcc
	v_add_co_u32_e32 v1, vcc, v1, v11
	v_addc_co_u32_e32 v2, vcc, 0, v2, vcc
	v_mov_b32_e32 v14, v9
	v_mov_b32_e32 v15, v8
	s_branch .LBB38_14
.LBB38_13:                              ;   in Loop: Header=BB38_14 Depth=2
	s_or_b64 exec, exec, s[2:3]
	v_add_co_u32_e32 v1, vcc, 0x80, v1
	v_addc_co_u32_e32 v2, vcc, 0, v2, vcc
	v_cmp_le_i32_e32 vcc, s22, v15
	s_or_b64 s[40:41], vcc, s[40:41]
	s_waitcnt vmcnt(0)
	v_fma_mix_f32 v10, v17, v16, v10 op_sel_hi:[0,1,0]
	s_andn2_b64 exec, exec, s[40:41]
	s_cbranch_execz .LBB38_3
.LBB38_14:                              ;   Parent Loop BB38_6 Depth=1
                                        ; =>  This Loop Header: Depth=2
                                        ;       Child Loop BB38_20 Depth 3
	global_load_ushort v16, v[1:2], off
	v_add_u32_e32 v3, s48, v14
	v_cmp_lt_i32_e32 vcc, -1, v3
	v_mov_b32_e32 v17, 0
	s_and_saveexec_b64 s[42:43], vcc
	s_cbranch_execz .LBB38_18
; %bb.15:                               ;   in Loop: Header=BB38_14 Depth=2
	v_add_u32_e32 v18, s49, v15
	v_cmp_gt_i32_e32 vcc, s19, v3
	v_cmp_gt_i32_e64 s[4:5], s18, v18
	v_cmp_lt_i32_e64 s[2:3], -1, v18
	s_and_b64 s[4:5], vcc, s[4:5]
	s_and_b64 s[4:5], s[4:5], s[2:3]
	v_mov_b32_e32 v17, 0
	s_and_saveexec_b64 s[2:3], s[4:5]
	s_cbranch_execz .LBB38_17
; %bb.16:                               ;   in Loop: Header=BB38_14 Depth=2
	v_mad_u64_u32 v[17:18], s[4:5], v18, s19, v[3:4]
	v_mov_b32_e32 v18, v7
	v_lshlrev_b64 v[17:18], 1, v[17:18]
	v_add_co_u32_e32 v17, vcc, v12, v17
	v_addc_co_u32_e32 v18, vcc, v13, v18, vcc
	global_load_ushort v3, v[17:18], off
	s_waitcnt vmcnt(0)
	v_cvt_f32_f16_e32 v17, v3
.LBB38_17:                              ;   in Loop: Header=BB38_14 Depth=2
	s_or_b64 exec, exec, s[2:3]
.LBB38_18:                              ;   in Loop: Header=BB38_14 Depth=2
	s_or_b64 exec, exec, s[42:43]
	v_add_u32_e32 v14, 64, v14
	v_cmp_le_i32_e32 vcc, s23, v14
	s_and_saveexec_b64 s[2:3], vcc
	s_cbranch_execz .LBB38_13
; %bb.19:                               ;   in Loop: Header=BB38_14 Depth=2
	s_mov_b64 s[4:5], 0
.LBB38_20:                              ;   Parent Loop BB38_6 Depth=1
                                        ;     Parent Loop BB38_14 Depth=2
                                        ; =>    This Inner Loop Header: Depth=3
	v_subrev_u32_e32 v14, s23, v14
	v_cmp_gt_i32_e32 vcc, s23, v14
	s_or_b64 s[4:5], vcc, s[4:5]
	v_add_u32_e32 v15, 1, v15
	s_andn2_b64 exec, exec, s[4:5]
	s_cbranch_execnz .LBB38_20
; %bb.21:                               ;   in Loop: Header=BB38_14 Depth=2
	s_or_b64 exec, exec, s[4:5]
	s_branch .LBB38_13
.LBB38_22:
	s_or_b64 exec, exec, s[8:9]
	v_cvt_f16_f32_e32 v2, v10
.LBB38_23:
	s_or_b64 exec, exec, s[6:7]
	s_bcnt1_i32_b32 s0, s44
	v_lshl_add_u32 v1, v0, 1, 0
	s_cmp_lg_u32 s0, 1
	s_mov_b64 s[0:1], -1
	ds_write_b16 v1, v2
	s_waitcnt lgkmcnt(0)
	s_barrier
	s_cbranch_scc1 .LBB38_32
; %bb.24:
	s_andn2_b64 vcc, exec, s[0:1]
	s_cbranch_vccnz .LBB38_28
.LBB38_25:
	s_cmp_lt_u32 s44, 2
	s_cbranch_scc0 .LBB38_30
.LBB38_26:
	v_cmp_eq_u32_e32 vcc, 0, v0
	s_and_saveexec_b64 s[0:1], vcc
	s_cbranch_execz .LBB38_28
; %bb.27:
	s_mul_i32 s0, s11, s33
	s_ashr_i32 s1, s0, 31
	s_lshl_b64 s[0:1], s[0:1], 1
	s_add_u32 s2, s34, s0
	s_mul_i32 s0, s12, s20
	s_addc_u32 s3, s35, s1
	s_ashr_i32 s1, s0, 31
	s_lshl_b64 s[0:1], s[0:1], 1
	s_add_u32 s2, s2, s0
	s_mul_i32 s0, s13, s16
	s_addc_u32 s3, s3, s1
	s_ashr_i32 s1, s0, 31
	s_lshl_b64 s[0:1], s[0:1], 1
	v_mov_b32_e32 v0, 0
	s_add_u32 s2, s2, s0
	s_mul_i32 s0, s14, s10
	ds_read_u16 v1, v0
	s_addc_u32 s3, s3, s1
	s_ashr_i32 s1, s0, 31
	s_lshl_b64 s[0:1], s[0:1], 1
	s_add_u32 s0, s2, s0
	s_addc_u32 s1, s3, s1
	s_waitcnt lgkmcnt(0)
	global_store_short v0, v1, s[0:1]
.LBB38_28:
	s_endpgm
.LBB38_29:                              ;   in Loop: Header=BB38_30 Depth=1
	s_or_b64 exec, exec, s[0:1]
	s_cmp_lt_u32 s44, 4
	s_mov_b32 s44, s2
	s_waitcnt lgkmcnt(0)
	s_barrier
	s_cbranch_scc1 .LBB38_26
.LBB38_30:                              ; =>This Inner Loop Header: Depth=1
	s_lshr_b32 s2, s44, 1
	v_cmp_gt_u32_e32 vcc, s2, v0
	s_and_saveexec_b64 s[0:1], vcc
	s_cbranch_execz .LBB38_29
; %bb.31:                               ;   in Loop: Header=BB38_30 Depth=1
	v_lshl_add_u32 v2, s2, 1, v1
	ds_read_u16 v2, v2
	ds_read_u16 v3, v1
	s_waitcnt lgkmcnt(0)
	v_add_f16_e32 v2, v2, v3
	ds_write_b16 v1, v2
	s_branch .LBB38_29
.LBB38_32:
	s_trap 2
	; divergent unreachable
	s_cbranch_execz .LBB38_25
	s_branch .LBB38_28
	.section	.rodata,"a",@progbits
	.p2align	6, 0x0
	.amdhsa_kernel _ZN2at6native12_GLOBAL__N_144conv_depthwise3d_cuda_backward_weight_kernelIN3c104HalfEfLi1ELi1EEEvN5torch10headeronly6detail27GenericPackedTensorAccessorINS7_14TensorAccessorINS3_8ArrayRefIlEEKT_Lm4ENS6_16DefaultPtrTraitsEiEENS_6detail16IndexBoundsCheckILm5EiEESD_Lm5ESE_iEESJ_NS8_INS9_ISB_SC_Lm4ESE_iEESI_SC_Lm5ESE_iEEiiiiiiiii
		.amdhsa_group_segment_fixed_size 0
		.amdhsa_private_segment_fixed_size 0
		.amdhsa_kernarg_size 440
		.amdhsa_user_sgpr_count 6
		.amdhsa_user_sgpr_private_segment_buffer 1
		.amdhsa_user_sgpr_dispatch_ptr 0
		.amdhsa_user_sgpr_queue_ptr 0
		.amdhsa_user_sgpr_kernarg_segment_ptr 1
		.amdhsa_user_sgpr_dispatch_id 0
		.amdhsa_user_sgpr_flat_scratch_init 0
		.amdhsa_user_sgpr_private_segment_size 0
		.amdhsa_uses_dynamic_stack 0
		.amdhsa_system_sgpr_private_segment_wavefront_offset 0
		.amdhsa_system_sgpr_workgroup_id_x 1
		.amdhsa_system_sgpr_workgroup_id_y 0
		.amdhsa_system_sgpr_workgroup_id_z 0
		.amdhsa_system_sgpr_workgroup_info 0
		.amdhsa_system_vgpr_workitem_id 0
		.amdhsa_next_free_vgpr 19
		.amdhsa_next_free_sgpr 50
		.amdhsa_reserve_vcc 1
		.amdhsa_reserve_flat_scratch 0
		.amdhsa_float_round_mode_32 0
		.amdhsa_float_round_mode_16_64 0
		.amdhsa_float_denorm_mode_32 3
		.amdhsa_float_denorm_mode_16_64 3
		.amdhsa_dx10_clamp 1
		.amdhsa_ieee_mode 1
		.amdhsa_fp16_overflow 0
		.amdhsa_exception_fp_ieee_invalid_op 0
		.amdhsa_exception_fp_denorm_src 0
		.amdhsa_exception_fp_ieee_div_zero 0
		.amdhsa_exception_fp_ieee_overflow 0
		.amdhsa_exception_fp_ieee_underflow 0
		.amdhsa_exception_fp_ieee_inexact 0
		.amdhsa_exception_int_div_zero 0
	.end_amdhsa_kernel
	.section	.text._ZN2at6native12_GLOBAL__N_144conv_depthwise3d_cuda_backward_weight_kernelIN3c104HalfEfLi1ELi1EEEvN5torch10headeronly6detail27GenericPackedTensorAccessorINS7_14TensorAccessorINS3_8ArrayRefIlEEKT_Lm4ENS6_16DefaultPtrTraitsEiEENS_6detail16IndexBoundsCheckILm5EiEESD_Lm5ESE_iEESJ_NS8_INS9_ISB_SC_Lm4ESE_iEESI_SC_Lm5ESE_iEEiiiiiiiii,"axG",@progbits,_ZN2at6native12_GLOBAL__N_144conv_depthwise3d_cuda_backward_weight_kernelIN3c104HalfEfLi1ELi1EEEvN5torch10headeronly6detail27GenericPackedTensorAccessorINS7_14TensorAccessorINS3_8ArrayRefIlEEKT_Lm4ENS6_16DefaultPtrTraitsEiEENS_6detail16IndexBoundsCheckILm5EiEESD_Lm5ESE_iEESJ_NS8_INS9_ISB_SC_Lm4ESE_iEESI_SC_Lm5ESE_iEEiiiiiiiii,comdat
.Lfunc_end38:
	.size	_ZN2at6native12_GLOBAL__N_144conv_depthwise3d_cuda_backward_weight_kernelIN3c104HalfEfLi1ELi1EEEvN5torch10headeronly6detail27GenericPackedTensorAccessorINS7_14TensorAccessorINS3_8ArrayRefIlEEKT_Lm4ENS6_16DefaultPtrTraitsEiEENS_6detail16IndexBoundsCheckILm5EiEESD_Lm5ESE_iEESJ_NS8_INS9_ISB_SC_Lm4ESE_iEESI_SC_Lm5ESE_iEEiiiiiiiii, .Lfunc_end38-_ZN2at6native12_GLOBAL__N_144conv_depthwise3d_cuda_backward_weight_kernelIN3c104HalfEfLi1ELi1EEEvN5torch10headeronly6detail27GenericPackedTensorAccessorINS7_14TensorAccessorINS3_8ArrayRefIlEEKT_Lm4ENS6_16DefaultPtrTraitsEiEENS_6detail16IndexBoundsCheckILm5EiEESD_Lm5ESE_iEESJ_NS8_INS9_ISB_SC_Lm4ESE_iEESI_SC_Lm5ESE_iEEiiiiiiiii
                                        ; -- End function
	.set _ZN2at6native12_GLOBAL__N_144conv_depthwise3d_cuda_backward_weight_kernelIN3c104HalfEfLi1ELi1EEEvN5torch10headeronly6detail27GenericPackedTensorAccessorINS7_14TensorAccessorINS3_8ArrayRefIlEEKT_Lm4ENS6_16DefaultPtrTraitsEiEENS_6detail16IndexBoundsCheckILm5EiEESD_Lm5ESE_iEESJ_NS8_INS9_ISB_SC_Lm4ESE_iEESI_SC_Lm5ESE_iEEiiiiiiiii.num_vgpr, 19
	.set _ZN2at6native12_GLOBAL__N_144conv_depthwise3d_cuda_backward_weight_kernelIN3c104HalfEfLi1ELi1EEEvN5torch10headeronly6detail27GenericPackedTensorAccessorINS7_14TensorAccessorINS3_8ArrayRefIlEEKT_Lm4ENS6_16DefaultPtrTraitsEiEENS_6detail16IndexBoundsCheckILm5EiEESD_Lm5ESE_iEESJ_NS8_INS9_ISB_SC_Lm4ESE_iEESI_SC_Lm5ESE_iEEiiiiiiiii.num_agpr, 0
	.set _ZN2at6native12_GLOBAL__N_144conv_depthwise3d_cuda_backward_weight_kernelIN3c104HalfEfLi1ELi1EEEvN5torch10headeronly6detail27GenericPackedTensorAccessorINS7_14TensorAccessorINS3_8ArrayRefIlEEKT_Lm4ENS6_16DefaultPtrTraitsEiEENS_6detail16IndexBoundsCheckILm5EiEESD_Lm5ESE_iEESJ_NS8_INS9_ISB_SC_Lm4ESE_iEESI_SC_Lm5ESE_iEEiiiiiiiii.numbered_sgpr, 50
	.set _ZN2at6native12_GLOBAL__N_144conv_depthwise3d_cuda_backward_weight_kernelIN3c104HalfEfLi1ELi1EEEvN5torch10headeronly6detail27GenericPackedTensorAccessorINS7_14TensorAccessorINS3_8ArrayRefIlEEKT_Lm4ENS6_16DefaultPtrTraitsEiEENS_6detail16IndexBoundsCheckILm5EiEESD_Lm5ESE_iEESJ_NS8_INS9_ISB_SC_Lm4ESE_iEESI_SC_Lm5ESE_iEEiiiiiiiii.num_named_barrier, 0
	.set _ZN2at6native12_GLOBAL__N_144conv_depthwise3d_cuda_backward_weight_kernelIN3c104HalfEfLi1ELi1EEEvN5torch10headeronly6detail27GenericPackedTensorAccessorINS7_14TensorAccessorINS3_8ArrayRefIlEEKT_Lm4ENS6_16DefaultPtrTraitsEiEENS_6detail16IndexBoundsCheckILm5EiEESD_Lm5ESE_iEESJ_NS8_INS9_ISB_SC_Lm4ESE_iEESI_SC_Lm5ESE_iEEiiiiiiiii.private_seg_size, 0
	.set _ZN2at6native12_GLOBAL__N_144conv_depthwise3d_cuda_backward_weight_kernelIN3c104HalfEfLi1ELi1EEEvN5torch10headeronly6detail27GenericPackedTensorAccessorINS7_14TensorAccessorINS3_8ArrayRefIlEEKT_Lm4ENS6_16DefaultPtrTraitsEiEENS_6detail16IndexBoundsCheckILm5EiEESD_Lm5ESE_iEESJ_NS8_INS9_ISB_SC_Lm4ESE_iEESI_SC_Lm5ESE_iEEiiiiiiiii.uses_vcc, 1
	.set _ZN2at6native12_GLOBAL__N_144conv_depthwise3d_cuda_backward_weight_kernelIN3c104HalfEfLi1ELi1EEEvN5torch10headeronly6detail27GenericPackedTensorAccessorINS7_14TensorAccessorINS3_8ArrayRefIlEEKT_Lm4ENS6_16DefaultPtrTraitsEiEENS_6detail16IndexBoundsCheckILm5EiEESD_Lm5ESE_iEESJ_NS8_INS9_ISB_SC_Lm4ESE_iEESI_SC_Lm5ESE_iEEiiiiiiiii.uses_flat_scratch, 0
	.set _ZN2at6native12_GLOBAL__N_144conv_depthwise3d_cuda_backward_weight_kernelIN3c104HalfEfLi1ELi1EEEvN5torch10headeronly6detail27GenericPackedTensorAccessorINS7_14TensorAccessorINS3_8ArrayRefIlEEKT_Lm4ENS6_16DefaultPtrTraitsEiEENS_6detail16IndexBoundsCheckILm5EiEESD_Lm5ESE_iEESJ_NS8_INS9_ISB_SC_Lm4ESE_iEESI_SC_Lm5ESE_iEEiiiiiiiii.has_dyn_sized_stack, 0
	.set _ZN2at6native12_GLOBAL__N_144conv_depthwise3d_cuda_backward_weight_kernelIN3c104HalfEfLi1ELi1EEEvN5torch10headeronly6detail27GenericPackedTensorAccessorINS7_14TensorAccessorINS3_8ArrayRefIlEEKT_Lm4ENS6_16DefaultPtrTraitsEiEENS_6detail16IndexBoundsCheckILm5EiEESD_Lm5ESE_iEESJ_NS8_INS9_ISB_SC_Lm4ESE_iEESI_SC_Lm5ESE_iEEiiiiiiiii.has_recursion, 0
	.set _ZN2at6native12_GLOBAL__N_144conv_depthwise3d_cuda_backward_weight_kernelIN3c104HalfEfLi1ELi1EEEvN5torch10headeronly6detail27GenericPackedTensorAccessorINS7_14TensorAccessorINS3_8ArrayRefIlEEKT_Lm4ENS6_16DefaultPtrTraitsEiEENS_6detail16IndexBoundsCheckILm5EiEESD_Lm5ESE_iEESJ_NS8_INS9_ISB_SC_Lm4ESE_iEESI_SC_Lm5ESE_iEEiiiiiiiii.has_indirect_call, 0
	.section	.AMDGPU.csdata,"",@progbits
; Kernel info:
; codeLenInByte = 1804
; TotalNumSgprs: 54
; NumVgprs: 19
; ScratchSize: 0
; MemoryBound: 0
; FloatMode: 240
; IeeeMode: 1
; LDSByteSize: 0 bytes/workgroup (compile time only)
; SGPRBlocks: 6
; VGPRBlocks: 4
; NumSGPRsForWavesPerEU: 54
; NumVGPRsForWavesPerEU: 19
; Occupancy: 10
; WaveLimiterHint : 1
; COMPUTE_PGM_RSRC2:SCRATCH_EN: 0
; COMPUTE_PGM_RSRC2:USER_SGPR: 6
; COMPUTE_PGM_RSRC2:TRAP_HANDLER: 0
; COMPUTE_PGM_RSRC2:TGID_X_EN: 1
; COMPUTE_PGM_RSRC2:TGID_Y_EN: 0
; COMPUTE_PGM_RSRC2:TGID_Z_EN: 0
; COMPUTE_PGM_RSRC2:TIDIG_COMP_CNT: 0
	.section	.text._ZN2at6native12_GLOBAL__N_144conv_depthwise3d_cuda_backward_weight_kernelIN3c104HalfEfLi2ELi2EEEvN5torch10headeronly6detail27GenericPackedTensorAccessorINS7_14TensorAccessorINS3_8ArrayRefIlEEKT_Lm4ENS6_16DefaultPtrTraitsEiEENS_6detail16IndexBoundsCheckILm5EiEESD_Lm5ESE_iEESJ_NS8_INS9_ISB_SC_Lm4ESE_iEESI_SC_Lm5ESE_iEEiiiiiiiii,"axG",@progbits,_ZN2at6native12_GLOBAL__N_144conv_depthwise3d_cuda_backward_weight_kernelIN3c104HalfEfLi2ELi2EEEvN5torch10headeronly6detail27GenericPackedTensorAccessorINS7_14TensorAccessorINS3_8ArrayRefIlEEKT_Lm4ENS6_16DefaultPtrTraitsEiEENS_6detail16IndexBoundsCheckILm5EiEESD_Lm5ESE_iEESJ_NS8_INS9_ISB_SC_Lm4ESE_iEESI_SC_Lm5ESE_iEEiiiiiiiii,comdat
	.globl	_ZN2at6native12_GLOBAL__N_144conv_depthwise3d_cuda_backward_weight_kernelIN3c104HalfEfLi2ELi2EEEvN5torch10headeronly6detail27GenericPackedTensorAccessorINS7_14TensorAccessorINS3_8ArrayRefIlEEKT_Lm4ENS6_16DefaultPtrTraitsEiEENS_6detail16IndexBoundsCheckILm5EiEESD_Lm5ESE_iEESJ_NS8_INS9_ISB_SC_Lm4ESE_iEESI_SC_Lm5ESE_iEEiiiiiiiii ; -- Begin function _ZN2at6native12_GLOBAL__N_144conv_depthwise3d_cuda_backward_weight_kernelIN3c104HalfEfLi2ELi2EEEvN5torch10headeronly6detail27GenericPackedTensorAccessorINS7_14TensorAccessorINS3_8ArrayRefIlEEKT_Lm4ENS6_16DefaultPtrTraitsEiEENS_6detail16IndexBoundsCheckILm5EiEESD_Lm5ESE_iEESJ_NS8_INS9_ISB_SC_Lm4ESE_iEESI_SC_Lm5ESE_iEEiiiiiiiii
	.p2align	8
	.type	_ZN2at6native12_GLOBAL__N_144conv_depthwise3d_cuda_backward_weight_kernelIN3c104HalfEfLi2ELi2EEEvN5torch10headeronly6detail27GenericPackedTensorAccessorINS7_14TensorAccessorINS3_8ArrayRefIlEEKT_Lm4ENS6_16DefaultPtrTraitsEiEENS_6detail16IndexBoundsCheckILm5EiEESD_Lm5ESE_iEESJ_NS8_INS9_ISB_SC_Lm4ESE_iEESI_SC_Lm5ESE_iEEiiiiiiiii,@function
_ZN2at6native12_GLOBAL__N_144conv_depthwise3d_cuda_backward_weight_kernelIN3c104HalfEfLi2ELi2EEEvN5torch10headeronly6detail27GenericPackedTensorAccessorINS7_14TensorAccessorINS3_8ArrayRefIlEEKT_Lm4ENS6_16DefaultPtrTraitsEiEENS_6detail16IndexBoundsCheckILm5EiEESD_Lm5ESE_iEESJ_NS8_INS9_ISB_SC_Lm4ESE_iEESI_SC_Lm5ESE_iEEiiiiiiiii: ; @_ZN2at6native12_GLOBAL__N_144conv_depthwise3d_cuda_backward_weight_kernelIN3c104HalfEfLi2ELi2EEEvN5torch10headeronly6detail27GenericPackedTensorAccessorINS7_14TensorAccessorINS3_8ArrayRefIlEEKT_Lm4ENS6_16DefaultPtrTraitsEiEENS_6detail16IndexBoundsCheckILm5EiEESD_Lm5ESE_iEESJ_NS8_INS9_ISB_SC_Lm4ESE_iEESI_SC_Lm5ESE_iEEiiiiiiiii
; %bb.0:
	s_load_dwordx4 s[8:11], s[4:5], 0x70
	s_add_u32 s0, s4, 0x60
	s_addc_u32 s1, s5, 0
	s_load_dwordx4 s[16:19], s[4:5], 0x3c
	s_load_dwordx4 s[20:23], s[4:5], 0xc
	s_waitcnt lgkmcnt(0)
	v_cvt_f32_u32_e32 v1, s10
	v_cvt_f32_u32_e32 v2, s9
	s_sub_i32 s2, 0, s10
	v_rcp_iflag_f32_e32 v1, v1
	v_rcp_iflag_f32_e32 v2, v2
	v_mul_f32_e32 v1, 0x4f7ffffe, v1
	v_cvt_u32_f32_e32 v1, v1
	v_mul_f32_e32 v2, 0x4f7ffffe, v2
	v_cvt_u32_f32_e32 v2, v2
	v_readfirstlane_b32 s3, v1
	s_mul_i32 s2, s2, s3
	s_mul_hi_u32 s2, s3, s2
	s_add_i32 s3, s3, s2
	s_mul_hi_u32 s2, s6, s3
	s_mul_i32 s3, s2, s10
	s_sub_i32 s3, s6, s3
	s_add_i32 s12, s2, 1
	s_sub_i32 s13, s3, s10
	s_cmp_ge_u32 s3, s10
	s_cselect_b32 s2, s12, s2
	s_cselect_b32 s3, s13, s3
	s_add_i32 s12, s2, 1
	s_cmp_ge_u32 s3, s10
	v_cvt_f32_u32_e32 v1, s8
	v_readfirstlane_b32 s7, v2
	s_cselect_b32 s2, s12, s2
	s_sub_i32 s3, 0, s9
	s_mul_i32 s3, s3, s7
	s_mul_hi_u32 s3, s7, s3
	s_add_i32 s7, s7, s3
	v_rcp_iflag_f32_e32 v1, v1
	s_mul_hi_u32 s3, s2, s7
	s_mul_i32 s7, s3, s9
	s_sub_i32 s7, s2, s7
	s_add_i32 s12, s3, 1
	s_sub_i32 s13, s7, s9
	v_mul_f32_e32 v1, 0x4f7ffffe, v1
	s_cmp_ge_u32 s7, s9
	v_cvt_u32_f32_e32 v1, v1
	s_cselect_b32 s3, s12, s3
	s_cselect_b32 s7, s13, s7
	s_add_i32 s12, s3, 1
	s_cmp_ge_u32 s7, s9
	s_cselect_b32 s3, s12, s3
	s_sub_i32 s7, 0, s8
	v_readfirstlane_b32 s12, v1
	s_mul_i32 s7, s7, s12
	s_mul_hi_u32 s7, s12, s7
	s_add_i32 s12, s12, s7
	s_mul_hi_u32 s7, s3, s12
	s_mul_i32 s12, s7, s8
	s_sub_i32 s12, s3, s12
	s_add_i32 s13, s7, 1
	s_sub_i32 s14, s12, s8
	s_cmp_ge_u32 s12, s8
	s_cselect_b32 s7, s13, s7
	s_cselect_b32 s12, s14, s12
	s_add_i32 s13, s7, 1
	s_cmp_ge_u32 s12, s8
	s_cselect_b32 s33, s13, s7
	s_abs_i32 s7, s16
	v_cvt_f32_u32_e32 v1, s7
	s_sub_i32 s14, 0, s7
	s_abs_i32 s13, s20
	s_xor_b32 s12, s20, s16
	v_rcp_iflag_f32_e32 v1, v1
	s_ashr_i32 s12, s12, 31
	v_mul_f32_e32 v1, 0x4f7ffffe, v1
	v_cvt_u32_f32_e32 v1, v1
	v_readfirstlane_b32 s15, v1
	s_mul_i32 s14, s14, s15
	s_mul_hi_u32 s14, s15, s14
	s_add_i32 s15, s15, s14
	s_mul_hi_u32 s14, s13, s15
	s_mul_i32 s15, s14, s7
	s_sub_i32 s13, s13, s15
	s_add_i32 s15, s14, 1
	s_sub_i32 s16, s13, s7
	s_cmp_ge_u32 s13, s7
	s_cselect_b32 s14, s15, s14
	s_cselect_b32 s13, s16, s13
	s_add_i32 s15, s14, 1
	s_cmp_ge_u32 s13, s7
	s_cselect_b32 s7, s15, s14
	s_xor_b32 s7, s7, s12
	s_sub_i32 s25, s7, s12
	s_abs_i32 s24, s25
	v_cvt_f32_u32_e32 v1, s24
	s_load_dword s7, s[4:5], 0x68
	v_rcp_iflag_f32_e32 v1, v1
	s_waitcnt lgkmcnt(0)
	s_cmp_ge_i32 s33, s7
	v_mul_f32_e32 v1, 0x4f7ffffe, v1
	v_cvt_u32_f32_e32 v1, v1
	v_readfirstlane_b32 s26, v1
	s_cbranch_scc1 .LBB39_28
; %bb.1:
	s_load_dwordx2 s[34:35], s[0:1], 0x0
	s_load_dwordx4 s[12:15], s[0:1], 0x24
	s_mul_i32 s0, s2, s10
	s_sub_i32 s10, s6, s0
	s_mul_i32 s0, s3, s9
	s_sub_i32 s16, s2, s0
	s_load_dword s0, s[4:5], 0xc4
	s_load_dword s45, s[4:5], 0x38
	s_mul_i32 s1, s33, s8
	v_lshrrev_b32_e32 v4, 6, v0
	s_sub_i32 s20, s3, s1
	s_waitcnt lgkmcnt(0)
	s_and_b32 s44, s0, 0xffff
	s_mul_i32 s45, s45, s21
	v_cmp_gt_i32_e32 vcc, s45, v4
	v_mov_b32_e32 v2, 0
	s_and_saveexec_b64 s[6:7], vcc
	s_cbranch_execz .LBB39_23
; %bb.2:
	s_sub_i32 s3, 0, s24
	s_mul_i32 s3, s3, s26
	s_mul_hi_u32 s3, s26, s3
	s_abs_i32 s2, s33
	s_add_i32 s26, s26, s3
	s_ashr_i32 s0, s33, 31
	s_ashr_i32 s1, s25, 31
	s_mul_hi_u32 s3, s2, s26
	s_xor_b32 s28, s0, s1
	s_mul_i32 s0, s3, s24
	s_sub_i32 s0, s2, s0
	s_lshr_b32 s46, s44, 6
	s_add_i32 s1, s3, 1
	s_sub_i32 s2, s0, s24
	s_cmp_ge_u32 s0, s24
	s_cselect_b32 s1, s1, s3
	s_cselect_b32 s0, s2, s0
	s_add_i32 s2, s1, 1
	s_cmp_ge_u32 s0, s24
	s_cselect_b32 s29, s2, s1
	s_abs_i32 s42, s21
	v_cvt_f32_u32_e32 v1, s42
	s_sub_i32 s0, 0, s42
	s_ashr_i32 s43, s21, 31
	v_and_b32_e32 v10, 63, v0
	v_rcp_iflag_f32_e32 v1, v1
	v_mov_b32_e32 v7, 0
	v_lshlrev_b32_e32 v11, 1, v10
	v_mul_f32_e32 v1, 0x4f7ffffe, v1
	v_cvt_u32_f32_e32 v1, v1
	v_mul_lo_u32 v2, s0, v1
	s_load_dwordx4 s[0:3], s[4:5], 0x9c
	s_load_dwordx2 s[8:9], s[4:5], 0xac
	s_load_dwordx2 s[36:37], s[4:5], 0x0
	s_load_dwordx4 s[24:27], s[4:5], 0x1c
	v_mul_hi_u32 v2, v1, v2
	s_waitcnt lgkmcnt(0)
	s_mul_i32 s3, s20, s3
	s_sub_i32 s27, s3, s0
	s_xor_b32 s0, s29, s28
	s_sub_i32 s0, s0, s28
	s_load_dwordx2 s[40:41], s[4:5], 0x30
	s_load_dwordx4 s[28:31], s[4:5], 0x4c
	s_mul_i32 s38, s25, s33
	s_ashr_i32 s39, s38, 31
	s_lshl_b64 s[4:5], s[38:39], 1
	s_add_u32 s25, s36, s4
	s_waitcnt lgkmcnt(0)
	s_mul_i32 s4, s29, s0
	s_addc_u32 s31, s37, s5
	s_ashr_i32 s5, s4, 31
	s_lshl_b64 s[4:5], s[4:5], 1
	s_add_u32 s29, s40, s4
	s_addc_u32 s47, s41, s5
	s_abs_i32 s0, s23
	v_cvt_f32_u32_e32 v3, s0
	v_add_u32_e32 v1, v1, v2
	v_mul_hi_u32 v1, v4, v1
	s_sub_i32 s3, 0, s0
	v_rcp_iflag_f32_e32 v3, v3
	v_mul_lo_u32 v2, v1, s42
	v_add_u32_e32 v5, 1, v1
	v_mul_f32_e32 v3, 0x4f7ffffe, v3
	v_cvt_u32_f32_e32 v3, v3
	v_sub_u32_e32 v2, v4, v2
	v_cmp_le_u32_e32 vcc, s42, v2
	v_cndmask_b32_e32 v1, v1, v5, vcc
	v_subrev_u32_e32 v5, s42, v2
	v_cndmask_b32_e32 v2, v2, v5, vcc
	v_mul_lo_u32 v5, s3, v3
	v_cmp_le_u32_e32 vcc, s42, v2
	v_add_u32_e32 v6, 1, v1
	v_cndmask_b32_e32 v1, v1, v6, vcc
	v_mul_hi_u32 v2, v3, v5
	v_xor_b32_e32 v1, s43, v1
	v_subrev_u32_e32 v5, s43, v1
	v_mul_lo_u32 v1, v5, s21
	v_add_u32_e32 v2, v3, v2
	v_mul_hi_u32 v2, v10, v2
	s_mul_i32 s3, s10, s9
	v_sub_u32_e32 v6, v4, v1
	s_sub_i32 s48, s3, s2
	v_mul_lo_u32 v1, v2, s0
	v_add_u32_e32 v3, 1, v2
	s_ashr_i32 s2, s23, 31
	v_sub_u32_e32 v1, v10, v1
	v_cmp_le_u32_e32 vcc, s0, v1
	v_cndmask_b32_e32 v2, v2, v3, vcc
	v_subrev_u32_e32 v3, s0, v1
	v_cndmask_b32_e32 v1, v1, v3, vcc
	v_add_u32_e32 v3, 1, v2
	v_cmp_le_u32_e32 vcc, s0, v1
	v_cndmask_b32_e32 v1, v2, v3, vcc
	v_xor_b32_e32 v1, s2, v1
	v_subrev_u32_e32 v8, s2, v1
	v_mul_lo_u32 v1, v8, s23
	s_mul_i32 s0, s16, s8
	s_sub_i32 s49, s0, s1
	v_cmp_gt_i32_e64 s[0:1], s22, v8
	v_sub_u32_e32 v9, v10, v1
	s_mov_b64 s[8:9], 0
	v_mov_b32_e32 v10, 0
	s_branch .LBB39_6
.LBB39_3:                               ;   in Loop: Header=BB39_6 Depth=1
	s_or_b64 exec, exec, s[40:41]
.LBB39_4:                               ;   in Loop: Header=BB39_6 Depth=1
	s_or_b64 exec, exec, s[38:39]
.LBB39_5:                               ;   in Loop: Header=BB39_6 Depth=1
	s_or_b64 exec, exec, s[36:37]
	v_add_u32_e32 v4, s46, v4
	v_cmp_le_i32_e32 vcc, s45, v4
	s_or_b64 s[8:9], vcc, s[8:9]
	v_add_u32_e32 v6, s46, v6
	s_andn2_b64 exec, exec, s[8:9]
	s_cbranch_execz .LBB39_22
.LBB39_6:                               ; =>This Loop Header: Depth=1
                                        ;     Child Loop BB39_8 Depth 2
                                        ;     Child Loop BB39_14 Depth 2
                                        ;       Child Loop BB39_20 Depth 3
	v_cmp_le_i32_e32 vcc, s21, v6
	s_and_saveexec_b64 s[2:3], vcc
	s_cbranch_execz .LBB39_10
; %bb.7:                                ;   in Loop: Header=BB39_6 Depth=1
	s_mov_b64 s[4:5], 0
.LBB39_8:                               ;   Parent Loop BB39_6 Depth=1
                                        ; =>  This Inner Loop Header: Depth=2
	v_subrev_u32_e32 v6, s21, v6
	v_cmp_gt_i32_e32 vcc, s21, v6
	s_or_b64 s[4:5], vcc, s[4:5]
	v_add_u32_e32 v5, 1, v5
	s_andn2_b64 exec, exec, s[4:5]
	s_cbranch_execnz .LBB39_8
; %bb.9:                                ;   in Loop: Header=BB39_6 Depth=1
	s_or_b64 exec, exec, s[4:5]
.LBB39_10:                              ;   in Loop: Header=BB39_6 Depth=1
	s_or_b64 exec, exec, s[2:3]
	v_mul_lo_u32 v1, v6, s15
	v_add_u32_e32 v1, s27, v1
	v_cmp_lt_i32_e32 vcc, -1, v1
	v_cmp_gt_i32_e64 s[2:3], s17, v1
	s_and_b64 s[2:3], vcc, s[2:3]
	s_and_saveexec_b64 s[36:37], s[2:3]
	s_cbranch_execz .LBB39_5
; %bb.11:                               ;   in Loop: Header=BB39_6 Depth=1
	s_and_saveexec_b64 s[38:39], s[0:1]
	s_cbranch_execz .LBB39_4
; %bb.12:                               ;   in Loop: Header=BB39_6 Depth=1
	v_mul_lo_u32 v2, s28, v5
	v_mul_lo_u32 v1, s30, v1
	v_mul_lo_u32 v14, s24, v5
	v_mov_b32_e32 v12, s47
	v_ashrrev_i32_e32 v3, 31, v2
	v_lshlrev_b64 v[2:3], 1, v[2:3]
	v_ashrrev_i32_e32 v15, 31, v14
	v_add_co_u32_e32 v13, vcc, s29, v2
	v_ashrrev_i32_e32 v2, 31, v1
	v_lshlrev_b64 v[1:2], 1, v[1:2]
	v_addc_co_u32_e32 v3, vcc, v12, v3, vcc
	v_add_co_u32_e32 v12, vcc, v13, v1
	v_addc_co_u32_e32 v13, vcc, v3, v2, vcc
	v_lshlrev_b64 v[1:2], 1, v[14:15]
	v_mul_lo_u32 v14, s26, v6
	v_mov_b32_e32 v3, s31
	v_add_co_u32_e32 v16, vcc, s25, v1
	v_ashrrev_i32_e32 v15, 31, v14
	v_addc_co_u32_e32 v3, vcc, v3, v2, vcc
	v_lshlrev_b64 v[1:2], 1, v[14:15]
	s_mov_b64 s[40:41], 0
	v_add_co_u32_e32 v1, vcc, v16, v1
	v_addc_co_u32_e32 v2, vcc, v3, v2, vcc
	v_add_co_u32_e32 v1, vcc, v1, v11
	v_addc_co_u32_e32 v2, vcc, 0, v2, vcc
	v_mov_b32_e32 v14, v9
	v_mov_b32_e32 v15, v8
	s_branch .LBB39_14
.LBB39_13:                              ;   in Loop: Header=BB39_14 Depth=2
	s_or_b64 exec, exec, s[2:3]
	v_add_co_u32_e32 v1, vcc, 0x80, v1
	v_addc_co_u32_e32 v2, vcc, 0, v2, vcc
	v_cmp_le_i32_e32 vcc, s22, v15
	s_or_b64 s[40:41], vcc, s[40:41]
	s_waitcnt vmcnt(0)
	v_fma_mix_f32 v10, v17, v16, v10 op_sel_hi:[0,1,0]
	s_andn2_b64 exec, exec, s[40:41]
	s_cbranch_execz .LBB39_3
.LBB39_14:                              ;   Parent Loop BB39_6 Depth=1
                                        ; =>  This Loop Header: Depth=2
                                        ;       Child Loop BB39_20 Depth 3
	global_load_ushort v16, v[1:2], off
	v_lshl_add_u32 v3, v14, 1, s48
	v_cmp_lt_i32_e32 vcc, -1, v3
	v_mov_b32_e32 v17, 0
	s_and_saveexec_b64 s[42:43], vcc
	s_cbranch_execz .LBB39_18
; %bb.15:                               ;   in Loop: Header=BB39_14 Depth=2
	v_lshl_add_u32 v18, v15, 1, s49
	v_cmp_gt_i32_e32 vcc, s19, v3
	v_cmp_gt_i32_e64 s[4:5], s18, v18
	v_cmp_lt_i32_e64 s[2:3], -1, v18
	s_and_b64 s[4:5], vcc, s[4:5]
	s_and_b64 s[4:5], s[4:5], s[2:3]
	v_mov_b32_e32 v17, 0
	s_and_saveexec_b64 s[2:3], s[4:5]
	s_cbranch_execz .LBB39_17
; %bb.16:                               ;   in Loop: Header=BB39_14 Depth=2
	v_mad_u64_u32 v[17:18], s[4:5], v18, s19, v[3:4]
	v_mov_b32_e32 v18, v7
	v_lshlrev_b64 v[17:18], 1, v[17:18]
	v_add_co_u32_e32 v17, vcc, v12, v17
	v_addc_co_u32_e32 v18, vcc, v13, v18, vcc
	global_load_ushort v3, v[17:18], off
	s_waitcnt vmcnt(0)
	v_cvt_f32_f16_e32 v17, v3
.LBB39_17:                              ;   in Loop: Header=BB39_14 Depth=2
	s_or_b64 exec, exec, s[2:3]
.LBB39_18:                              ;   in Loop: Header=BB39_14 Depth=2
	s_or_b64 exec, exec, s[42:43]
	v_add_u32_e32 v14, 64, v14
	v_cmp_le_i32_e32 vcc, s23, v14
	s_and_saveexec_b64 s[2:3], vcc
	s_cbranch_execz .LBB39_13
; %bb.19:                               ;   in Loop: Header=BB39_14 Depth=2
	s_mov_b64 s[4:5], 0
.LBB39_20:                              ;   Parent Loop BB39_6 Depth=1
                                        ;     Parent Loop BB39_14 Depth=2
                                        ; =>    This Inner Loop Header: Depth=3
	v_subrev_u32_e32 v14, s23, v14
	v_cmp_gt_i32_e32 vcc, s23, v14
	s_or_b64 s[4:5], vcc, s[4:5]
	v_add_u32_e32 v15, 1, v15
	s_andn2_b64 exec, exec, s[4:5]
	s_cbranch_execnz .LBB39_20
; %bb.21:                               ;   in Loop: Header=BB39_14 Depth=2
	s_or_b64 exec, exec, s[4:5]
	s_branch .LBB39_13
.LBB39_22:
	s_or_b64 exec, exec, s[8:9]
	v_cvt_f16_f32_e32 v2, v10
.LBB39_23:
	s_or_b64 exec, exec, s[6:7]
	s_bcnt1_i32_b32 s0, s44
	v_lshl_add_u32 v1, v0, 1, 0
	s_cmp_lg_u32 s0, 1
	s_mov_b64 s[0:1], -1
	ds_write_b16 v1, v2
	s_waitcnt lgkmcnt(0)
	s_barrier
	s_cbranch_scc1 .LBB39_32
; %bb.24:
	s_andn2_b64 vcc, exec, s[0:1]
	s_cbranch_vccnz .LBB39_28
.LBB39_25:
	s_cmp_lt_u32 s44, 2
	s_cbranch_scc0 .LBB39_30
.LBB39_26:
	v_cmp_eq_u32_e32 vcc, 0, v0
	s_and_saveexec_b64 s[0:1], vcc
	s_cbranch_execz .LBB39_28
; %bb.27:
	s_mul_i32 s0, s11, s33
	s_ashr_i32 s1, s0, 31
	s_lshl_b64 s[0:1], s[0:1], 1
	s_add_u32 s2, s34, s0
	s_mul_i32 s0, s12, s20
	s_addc_u32 s3, s35, s1
	s_ashr_i32 s1, s0, 31
	s_lshl_b64 s[0:1], s[0:1], 1
	s_add_u32 s2, s2, s0
	s_mul_i32 s0, s13, s16
	s_addc_u32 s3, s3, s1
	s_ashr_i32 s1, s0, 31
	s_lshl_b64 s[0:1], s[0:1], 1
	v_mov_b32_e32 v0, 0
	s_add_u32 s2, s2, s0
	s_mul_i32 s0, s14, s10
	ds_read_u16 v1, v0
	s_addc_u32 s3, s3, s1
	s_ashr_i32 s1, s0, 31
	s_lshl_b64 s[0:1], s[0:1], 1
	s_add_u32 s0, s2, s0
	s_addc_u32 s1, s3, s1
	s_waitcnt lgkmcnt(0)
	global_store_short v0, v1, s[0:1]
.LBB39_28:
	s_endpgm
.LBB39_29:                              ;   in Loop: Header=BB39_30 Depth=1
	s_or_b64 exec, exec, s[0:1]
	s_cmp_lt_u32 s44, 4
	s_mov_b32 s44, s2
	s_waitcnt lgkmcnt(0)
	s_barrier
	s_cbranch_scc1 .LBB39_26
.LBB39_30:                              ; =>This Inner Loop Header: Depth=1
	s_lshr_b32 s2, s44, 1
	v_cmp_gt_u32_e32 vcc, s2, v0
	s_and_saveexec_b64 s[0:1], vcc
	s_cbranch_execz .LBB39_29
; %bb.31:                               ;   in Loop: Header=BB39_30 Depth=1
	v_lshl_add_u32 v2, s2, 1, v1
	ds_read_u16 v2, v2
	ds_read_u16 v3, v1
	s_waitcnt lgkmcnt(0)
	v_add_f16_e32 v2, v2, v3
	ds_write_b16 v1, v2
	s_branch .LBB39_29
.LBB39_32:
	s_trap 2
	; divergent unreachable
	s_cbranch_execz .LBB39_25
	s_branch .LBB39_28
	.section	.rodata,"a",@progbits
	.p2align	6, 0x0
	.amdhsa_kernel _ZN2at6native12_GLOBAL__N_144conv_depthwise3d_cuda_backward_weight_kernelIN3c104HalfEfLi2ELi2EEEvN5torch10headeronly6detail27GenericPackedTensorAccessorINS7_14TensorAccessorINS3_8ArrayRefIlEEKT_Lm4ENS6_16DefaultPtrTraitsEiEENS_6detail16IndexBoundsCheckILm5EiEESD_Lm5ESE_iEESJ_NS8_INS9_ISB_SC_Lm4ESE_iEESI_SC_Lm5ESE_iEEiiiiiiiii
		.amdhsa_group_segment_fixed_size 0
		.amdhsa_private_segment_fixed_size 0
		.amdhsa_kernarg_size 440
		.amdhsa_user_sgpr_count 6
		.amdhsa_user_sgpr_private_segment_buffer 1
		.amdhsa_user_sgpr_dispatch_ptr 0
		.amdhsa_user_sgpr_queue_ptr 0
		.amdhsa_user_sgpr_kernarg_segment_ptr 1
		.amdhsa_user_sgpr_dispatch_id 0
		.amdhsa_user_sgpr_flat_scratch_init 0
		.amdhsa_user_sgpr_private_segment_size 0
		.amdhsa_uses_dynamic_stack 0
		.amdhsa_system_sgpr_private_segment_wavefront_offset 0
		.amdhsa_system_sgpr_workgroup_id_x 1
		.amdhsa_system_sgpr_workgroup_id_y 0
		.amdhsa_system_sgpr_workgroup_id_z 0
		.amdhsa_system_sgpr_workgroup_info 0
		.amdhsa_system_vgpr_workitem_id 0
		.amdhsa_next_free_vgpr 19
		.amdhsa_next_free_sgpr 50
		.amdhsa_reserve_vcc 1
		.amdhsa_reserve_flat_scratch 0
		.amdhsa_float_round_mode_32 0
		.amdhsa_float_round_mode_16_64 0
		.amdhsa_float_denorm_mode_32 3
		.amdhsa_float_denorm_mode_16_64 3
		.amdhsa_dx10_clamp 1
		.amdhsa_ieee_mode 1
		.amdhsa_fp16_overflow 0
		.amdhsa_exception_fp_ieee_invalid_op 0
		.amdhsa_exception_fp_denorm_src 0
		.amdhsa_exception_fp_ieee_div_zero 0
		.amdhsa_exception_fp_ieee_overflow 0
		.amdhsa_exception_fp_ieee_underflow 0
		.amdhsa_exception_fp_ieee_inexact 0
		.amdhsa_exception_int_div_zero 0
	.end_amdhsa_kernel
	.section	.text._ZN2at6native12_GLOBAL__N_144conv_depthwise3d_cuda_backward_weight_kernelIN3c104HalfEfLi2ELi2EEEvN5torch10headeronly6detail27GenericPackedTensorAccessorINS7_14TensorAccessorINS3_8ArrayRefIlEEKT_Lm4ENS6_16DefaultPtrTraitsEiEENS_6detail16IndexBoundsCheckILm5EiEESD_Lm5ESE_iEESJ_NS8_INS9_ISB_SC_Lm4ESE_iEESI_SC_Lm5ESE_iEEiiiiiiiii,"axG",@progbits,_ZN2at6native12_GLOBAL__N_144conv_depthwise3d_cuda_backward_weight_kernelIN3c104HalfEfLi2ELi2EEEvN5torch10headeronly6detail27GenericPackedTensorAccessorINS7_14TensorAccessorINS3_8ArrayRefIlEEKT_Lm4ENS6_16DefaultPtrTraitsEiEENS_6detail16IndexBoundsCheckILm5EiEESD_Lm5ESE_iEESJ_NS8_INS9_ISB_SC_Lm4ESE_iEESI_SC_Lm5ESE_iEEiiiiiiiii,comdat
.Lfunc_end39:
	.size	_ZN2at6native12_GLOBAL__N_144conv_depthwise3d_cuda_backward_weight_kernelIN3c104HalfEfLi2ELi2EEEvN5torch10headeronly6detail27GenericPackedTensorAccessorINS7_14TensorAccessorINS3_8ArrayRefIlEEKT_Lm4ENS6_16DefaultPtrTraitsEiEENS_6detail16IndexBoundsCheckILm5EiEESD_Lm5ESE_iEESJ_NS8_INS9_ISB_SC_Lm4ESE_iEESI_SC_Lm5ESE_iEEiiiiiiiii, .Lfunc_end39-_ZN2at6native12_GLOBAL__N_144conv_depthwise3d_cuda_backward_weight_kernelIN3c104HalfEfLi2ELi2EEEvN5torch10headeronly6detail27GenericPackedTensorAccessorINS7_14TensorAccessorINS3_8ArrayRefIlEEKT_Lm4ENS6_16DefaultPtrTraitsEiEENS_6detail16IndexBoundsCheckILm5EiEESD_Lm5ESE_iEESJ_NS8_INS9_ISB_SC_Lm4ESE_iEESI_SC_Lm5ESE_iEEiiiiiiiii
                                        ; -- End function
	.set _ZN2at6native12_GLOBAL__N_144conv_depthwise3d_cuda_backward_weight_kernelIN3c104HalfEfLi2ELi2EEEvN5torch10headeronly6detail27GenericPackedTensorAccessorINS7_14TensorAccessorINS3_8ArrayRefIlEEKT_Lm4ENS6_16DefaultPtrTraitsEiEENS_6detail16IndexBoundsCheckILm5EiEESD_Lm5ESE_iEESJ_NS8_INS9_ISB_SC_Lm4ESE_iEESI_SC_Lm5ESE_iEEiiiiiiiii.num_vgpr, 19
	.set _ZN2at6native12_GLOBAL__N_144conv_depthwise3d_cuda_backward_weight_kernelIN3c104HalfEfLi2ELi2EEEvN5torch10headeronly6detail27GenericPackedTensorAccessorINS7_14TensorAccessorINS3_8ArrayRefIlEEKT_Lm4ENS6_16DefaultPtrTraitsEiEENS_6detail16IndexBoundsCheckILm5EiEESD_Lm5ESE_iEESJ_NS8_INS9_ISB_SC_Lm4ESE_iEESI_SC_Lm5ESE_iEEiiiiiiiii.num_agpr, 0
	.set _ZN2at6native12_GLOBAL__N_144conv_depthwise3d_cuda_backward_weight_kernelIN3c104HalfEfLi2ELi2EEEvN5torch10headeronly6detail27GenericPackedTensorAccessorINS7_14TensorAccessorINS3_8ArrayRefIlEEKT_Lm4ENS6_16DefaultPtrTraitsEiEENS_6detail16IndexBoundsCheckILm5EiEESD_Lm5ESE_iEESJ_NS8_INS9_ISB_SC_Lm4ESE_iEESI_SC_Lm5ESE_iEEiiiiiiiii.numbered_sgpr, 50
	.set _ZN2at6native12_GLOBAL__N_144conv_depthwise3d_cuda_backward_weight_kernelIN3c104HalfEfLi2ELi2EEEvN5torch10headeronly6detail27GenericPackedTensorAccessorINS7_14TensorAccessorINS3_8ArrayRefIlEEKT_Lm4ENS6_16DefaultPtrTraitsEiEENS_6detail16IndexBoundsCheckILm5EiEESD_Lm5ESE_iEESJ_NS8_INS9_ISB_SC_Lm4ESE_iEESI_SC_Lm5ESE_iEEiiiiiiiii.num_named_barrier, 0
	.set _ZN2at6native12_GLOBAL__N_144conv_depthwise3d_cuda_backward_weight_kernelIN3c104HalfEfLi2ELi2EEEvN5torch10headeronly6detail27GenericPackedTensorAccessorINS7_14TensorAccessorINS3_8ArrayRefIlEEKT_Lm4ENS6_16DefaultPtrTraitsEiEENS_6detail16IndexBoundsCheckILm5EiEESD_Lm5ESE_iEESJ_NS8_INS9_ISB_SC_Lm4ESE_iEESI_SC_Lm5ESE_iEEiiiiiiiii.private_seg_size, 0
	.set _ZN2at6native12_GLOBAL__N_144conv_depthwise3d_cuda_backward_weight_kernelIN3c104HalfEfLi2ELi2EEEvN5torch10headeronly6detail27GenericPackedTensorAccessorINS7_14TensorAccessorINS3_8ArrayRefIlEEKT_Lm4ENS6_16DefaultPtrTraitsEiEENS_6detail16IndexBoundsCheckILm5EiEESD_Lm5ESE_iEESJ_NS8_INS9_ISB_SC_Lm4ESE_iEESI_SC_Lm5ESE_iEEiiiiiiiii.uses_vcc, 1
	.set _ZN2at6native12_GLOBAL__N_144conv_depthwise3d_cuda_backward_weight_kernelIN3c104HalfEfLi2ELi2EEEvN5torch10headeronly6detail27GenericPackedTensorAccessorINS7_14TensorAccessorINS3_8ArrayRefIlEEKT_Lm4ENS6_16DefaultPtrTraitsEiEENS_6detail16IndexBoundsCheckILm5EiEESD_Lm5ESE_iEESJ_NS8_INS9_ISB_SC_Lm4ESE_iEESI_SC_Lm5ESE_iEEiiiiiiiii.uses_flat_scratch, 0
	.set _ZN2at6native12_GLOBAL__N_144conv_depthwise3d_cuda_backward_weight_kernelIN3c104HalfEfLi2ELi2EEEvN5torch10headeronly6detail27GenericPackedTensorAccessorINS7_14TensorAccessorINS3_8ArrayRefIlEEKT_Lm4ENS6_16DefaultPtrTraitsEiEENS_6detail16IndexBoundsCheckILm5EiEESD_Lm5ESE_iEESJ_NS8_INS9_ISB_SC_Lm4ESE_iEESI_SC_Lm5ESE_iEEiiiiiiiii.has_dyn_sized_stack, 0
	.set _ZN2at6native12_GLOBAL__N_144conv_depthwise3d_cuda_backward_weight_kernelIN3c104HalfEfLi2ELi2EEEvN5torch10headeronly6detail27GenericPackedTensorAccessorINS7_14TensorAccessorINS3_8ArrayRefIlEEKT_Lm4ENS6_16DefaultPtrTraitsEiEENS_6detail16IndexBoundsCheckILm5EiEESD_Lm5ESE_iEESJ_NS8_INS9_ISB_SC_Lm4ESE_iEESI_SC_Lm5ESE_iEEiiiiiiiii.has_recursion, 0
	.set _ZN2at6native12_GLOBAL__N_144conv_depthwise3d_cuda_backward_weight_kernelIN3c104HalfEfLi2ELi2EEEvN5torch10headeronly6detail27GenericPackedTensorAccessorINS7_14TensorAccessorINS3_8ArrayRefIlEEKT_Lm4ENS6_16DefaultPtrTraitsEiEENS_6detail16IndexBoundsCheckILm5EiEESD_Lm5ESE_iEESJ_NS8_INS9_ISB_SC_Lm4ESE_iEESI_SC_Lm5ESE_iEEiiiiiiiii.has_indirect_call, 0
	.section	.AMDGPU.csdata,"",@progbits
; Kernel info:
; codeLenInByte = 1812
; TotalNumSgprs: 54
; NumVgprs: 19
; ScratchSize: 0
; MemoryBound: 0
; FloatMode: 240
; IeeeMode: 1
; LDSByteSize: 0 bytes/workgroup (compile time only)
; SGPRBlocks: 6
; VGPRBlocks: 4
; NumSGPRsForWavesPerEU: 54
; NumVGPRsForWavesPerEU: 19
; Occupancy: 10
; WaveLimiterHint : 1
; COMPUTE_PGM_RSRC2:SCRATCH_EN: 0
; COMPUTE_PGM_RSRC2:USER_SGPR: 6
; COMPUTE_PGM_RSRC2:TRAP_HANDLER: 0
; COMPUTE_PGM_RSRC2:TGID_X_EN: 1
; COMPUTE_PGM_RSRC2:TGID_Y_EN: 0
; COMPUTE_PGM_RSRC2:TGID_Z_EN: 0
; COMPUTE_PGM_RSRC2:TIDIG_COMP_CNT: 0
	.section	.text._ZN2at6native12_GLOBAL__N_144conv_depthwise3d_cuda_backward_weight_kernelIN3c104HalfEfLin1ELin1EEEvN5torch10headeronly6detail27GenericPackedTensorAccessorINS7_14TensorAccessorINS3_8ArrayRefIlEEKT_Lm4ENS6_16DefaultPtrTraitsEiEENS_6detail16IndexBoundsCheckILm5EiEESD_Lm5ESE_iEESJ_NS8_INS9_ISB_SC_Lm4ESE_iEESI_SC_Lm5ESE_iEEiiiiiiiii,"axG",@progbits,_ZN2at6native12_GLOBAL__N_144conv_depthwise3d_cuda_backward_weight_kernelIN3c104HalfEfLin1ELin1EEEvN5torch10headeronly6detail27GenericPackedTensorAccessorINS7_14TensorAccessorINS3_8ArrayRefIlEEKT_Lm4ENS6_16DefaultPtrTraitsEiEENS_6detail16IndexBoundsCheckILm5EiEESD_Lm5ESE_iEESJ_NS8_INS9_ISB_SC_Lm4ESE_iEESI_SC_Lm5ESE_iEEiiiiiiiii,comdat
	.globl	_ZN2at6native12_GLOBAL__N_144conv_depthwise3d_cuda_backward_weight_kernelIN3c104HalfEfLin1ELin1EEEvN5torch10headeronly6detail27GenericPackedTensorAccessorINS7_14TensorAccessorINS3_8ArrayRefIlEEKT_Lm4ENS6_16DefaultPtrTraitsEiEENS_6detail16IndexBoundsCheckILm5EiEESD_Lm5ESE_iEESJ_NS8_INS9_ISB_SC_Lm4ESE_iEESI_SC_Lm5ESE_iEEiiiiiiiii ; -- Begin function _ZN2at6native12_GLOBAL__N_144conv_depthwise3d_cuda_backward_weight_kernelIN3c104HalfEfLin1ELin1EEEvN5torch10headeronly6detail27GenericPackedTensorAccessorINS7_14TensorAccessorINS3_8ArrayRefIlEEKT_Lm4ENS6_16DefaultPtrTraitsEiEENS_6detail16IndexBoundsCheckILm5EiEESD_Lm5ESE_iEESJ_NS8_INS9_ISB_SC_Lm4ESE_iEESI_SC_Lm5ESE_iEEiiiiiiiii
	.p2align	8
	.type	_ZN2at6native12_GLOBAL__N_144conv_depthwise3d_cuda_backward_weight_kernelIN3c104HalfEfLin1ELin1EEEvN5torch10headeronly6detail27GenericPackedTensorAccessorINS7_14TensorAccessorINS3_8ArrayRefIlEEKT_Lm4ENS6_16DefaultPtrTraitsEiEENS_6detail16IndexBoundsCheckILm5EiEESD_Lm5ESE_iEESJ_NS8_INS9_ISB_SC_Lm4ESE_iEESI_SC_Lm5ESE_iEEiiiiiiiii,@function
_ZN2at6native12_GLOBAL__N_144conv_depthwise3d_cuda_backward_weight_kernelIN3c104HalfEfLin1ELin1EEEvN5torch10headeronly6detail27GenericPackedTensorAccessorINS7_14TensorAccessorINS3_8ArrayRefIlEEKT_Lm4ENS6_16DefaultPtrTraitsEiEENS_6detail16IndexBoundsCheckILm5EiEESD_Lm5ESE_iEESJ_NS8_INS9_ISB_SC_Lm4ESE_iEESI_SC_Lm5ESE_iEEiiiiiiiii: ; @_ZN2at6native12_GLOBAL__N_144conv_depthwise3d_cuda_backward_weight_kernelIN3c104HalfEfLin1ELin1EEEvN5torch10headeronly6detail27GenericPackedTensorAccessorINS7_14TensorAccessorINS3_8ArrayRefIlEEKT_Lm4ENS6_16DefaultPtrTraitsEiEENS_6detail16IndexBoundsCheckILm5EiEESD_Lm5ESE_iEESJ_NS8_INS9_ISB_SC_Lm4ESE_iEESI_SC_Lm5ESE_iEEiiiiiiiii
; %bb.0:
	s_load_dwordx4 s[16:19], s[4:5], 0x70
	s_add_u32 s28, s4, 0x60
	s_addc_u32 s29, s5, 0
	s_load_dwordx4 s[20:23], s[4:5], 0x3c
	s_load_dwordx4 s[24:27], s[4:5], 0xc
	s_waitcnt lgkmcnt(0)
	v_cvt_f32_u32_e32 v1, s18
	v_cvt_f32_u32_e32 v2, s17
	s_sub_i32 s0, 0, s18
	v_rcp_iflag_f32_e32 v1, v1
	v_rcp_iflag_f32_e32 v2, v2
	v_mul_f32_e32 v1, 0x4f7ffffe, v1
	v_cvt_u32_f32_e32 v1, v1
	v_mul_f32_e32 v2, 0x4f7ffffe, v2
	v_cvt_u32_f32_e32 v2, v2
	v_readfirstlane_b32 s1, v1
	s_mul_i32 s0, s0, s1
	s_mul_hi_u32 s0, s1, s0
	s_add_i32 s1, s1, s0
	s_mul_hi_u32 s0, s6, s1
	s_mul_i32 s1, s0, s18
	s_sub_i32 s1, s6, s1
	s_add_i32 s3, s0, 1
	s_sub_i32 s7, s1, s18
	s_cmp_ge_u32 s1, s18
	s_cselect_b32 s0, s3, s0
	s_cselect_b32 s1, s7, s1
	s_add_i32 s3, s0, 1
	s_cmp_ge_u32 s1, s18
	v_cvt_f32_u32_e32 v1, s16
	v_readfirstlane_b32 s2, v2
	s_cselect_b32 s0, s3, s0
	s_sub_i32 s1, 0, s17
	s_mul_i32 s1, s1, s2
	s_mul_hi_u32 s1, s2, s1
	s_add_i32 s2, s2, s1
	v_rcp_iflag_f32_e32 v1, v1
	s_mul_hi_u32 s1, s0, s2
	s_mul_i32 s2, s1, s17
	s_sub_i32 s2, s0, s2
	s_add_i32 s3, s1, 1
	s_sub_i32 s7, s2, s17
	v_mul_f32_e32 v1, 0x4f7ffffe, v1
	s_cmp_ge_u32 s2, s17
	v_cvt_u32_f32_e32 v1, v1
	s_cselect_b32 s1, s3, s1
	s_cselect_b32 s2, s7, s2
	s_add_i32 s3, s1, 1
	s_cmp_ge_u32 s2, s17
	s_cselect_b32 s7, s3, s1
	s_sub_i32 s1, 0, s16
	v_readfirstlane_b32 s2, v1
	s_mul_i32 s1, s1, s2
	s_mul_hi_u32 s1, s2, s1
	s_add_i32 s2, s2, s1
	s_mul_hi_u32 s1, s7, s2
	s_mul_i32 s2, s1, s16
	s_sub_i32 s2, s7, s2
	s_add_i32 s3, s1, 1
	s_sub_i32 s8, s2, s16
	s_cmp_ge_u32 s2, s16
	s_cselect_b32 s1, s3, s1
	s_cselect_b32 s2, s8, s2
	s_add_i32 s3, s1, 1
	s_cmp_ge_u32 s2, s16
	s_cselect_b32 s33, s3, s1
	s_abs_i32 s1, s20
	v_cvt_f32_u32_e32 v1, s1
	s_sub_i32 s8, 0, s1
	s_abs_i32 s3, s24
	s_xor_b32 s2, s24, s20
	v_rcp_iflag_f32_e32 v1, v1
	s_ashr_i32 s2, s2, 31
	v_mul_f32_e32 v1, 0x4f7ffffe, v1
	v_cvt_u32_f32_e32 v1, v1
	v_readfirstlane_b32 s9, v1
	s_mul_i32 s8, s8, s9
	s_mul_hi_u32 s8, s9, s8
	s_add_i32 s9, s9, s8
	s_mul_hi_u32 s8, s3, s9
	s_mul_i32 s9, s8, s1
	s_sub_i32 s3, s3, s9
	s_add_i32 s9, s8, 1
	s_sub_i32 s10, s3, s1
	s_cmp_ge_u32 s3, s1
	s_cselect_b32 s8, s9, s8
	s_cselect_b32 s3, s10, s3
	s_add_i32 s9, s8, 1
	s_cmp_ge_u32 s3, s1
	s_cselect_b32 s1, s9, s8
	s_xor_b32 s1, s1, s2
	s_sub_i32 s31, s1, s2
	s_abs_i32 s30, s31
	v_cvt_f32_u32_e32 v1, s30
	s_load_dword s1, s[4:5], 0x68
	v_rcp_iflag_f32_e32 v1, v1
	s_waitcnt lgkmcnt(0)
	s_cmp_ge_i32 s33, s1
	v_mul_f32_e32 v1, 0x4f7ffffe, v1
	v_cvt_u32_f32_e32 v1, v1
	v_readfirstlane_b32 s36, v1
	s_cbranch_scc1 .LBB40_28
; %bb.1:
	s_mul_i32 s1, s0, s18
	s_sub_i32 s18, s6, s1
	s_mul_i32 s1, s7, s17
	s_load_dwordx2 s[34:35], s[28:29], 0x0
	s_load_dwordx8 s[8:15], s[28:29], 0x24
	s_sub_i32 s20, s0, s1
	s_load_dwordx4 s[0:3], s[28:29], 0x44
	s_load_dword s6, s[4:5], 0xc4
	s_load_dword s47, s[4:5], 0x38
	s_mul_i32 s16, s33, s16
	v_lshrrev_b32_e32 v4, 6, v0
	s_sub_i32 s24, s7, s16
	s_waitcnt lgkmcnt(0)
	s_and_b32 s46, s6, 0xffff
	s_mul_i32 s47, s47, s25
	v_cmp_gt_i32_e32 vcc, s47, v4
	v_mov_b32_e32 v2, 0
	s_and_saveexec_b64 s[6:7], vcc
	s_cbranch_execz .LBB40_23
; %bb.2:
	s_sub_i32 s29, 0, s30
	s_mul_i32 s29, s29, s36
	s_mul_hi_u32 s29, s36, s29
	s_abs_i32 s28, s33
	s_add_i32 s36, s36, s29
	s_ashr_i32 s16, s33, 31
	s_ashr_i32 s17, s31, 31
	s_mul_hi_u32 s29, s28, s36
	s_xor_b32 s36, s16, s17
	s_mul_i32 s16, s29, s30
	s_sub_i32 s16, s28, s16
	s_lshr_b32 s48, s46, 6
	s_add_i32 s17, s29, 1
	s_sub_i32 s28, s16, s30
	s_cmp_ge_u32 s16, s30
	s_cselect_b32 s17, s17, s29
	s_cselect_b32 s16, s28, s16
	s_add_i32 s28, s17, 1
	s_cmp_ge_u32 s16, s30
	s_cselect_b32 s37, s28, s17
	s_abs_i32 s44, s25
	v_cvt_f32_u32_e32 v1, s44
	s_sub_i32 s16, 0, s44
	s_mul_i32 s1, s24, s1
	s_ashr_i32 s45, s25, 31
	v_rcp_iflag_f32_e32 v1, v1
	v_and_b32_e32 v10, 63, v0
	s_mul_i32 s3, s18, s3
	v_mov_b32_e32 v7, 0
	v_mul_f32_e32 v1, 0x4f7ffffe, v1
	v_cvt_u32_f32_e32 v1, v1
	v_lshlrev_b32_e32 v11, 1, v10
	v_mul_lo_u32 v2, s16, v1
	s_load_dwordx4 s[28:31], s[4:5], 0x1c
	s_load_dwordx2 s[16:17], s[4:5], 0x0
	v_mul_hi_u32 v2, v1, v2
	s_waitcnt lgkmcnt(0)
	s_mul_i32 s40, s29, s33
	s_sub_i32 s29, s1, s14
	s_xor_b32 s1, s37, s36
	s_sub_i32 s1, s1, s36
	s_load_dwordx2 s[42:43], s[4:5], 0x30
	s_load_dwordx4 s[36:39], s[4:5], 0x4c
	s_ashr_i32 s41, s40, 31
	s_lshl_b64 s[4:5], s[40:41], 1
	s_add_u32 s31, s16, s4
	s_waitcnt lgkmcnt(0)
	s_addc_u32 s39, s17, s5
	s_mul_i32 s4, s37, s1
	s_ashr_i32 s5, s4, 31
	s_lshl_b64 s[4:5], s[4:5], 1
	s_add_u32 s37, s42, s4
	s_addc_u32 s49, s43, s5
	s_abs_i32 s1, s27
	v_cvt_f32_u32_e32 v3, s1
	v_add_u32_e32 v1, v1, v2
	v_mul_hi_u32 v1, v4, v1
	s_sub_i32 s4, 0, s1
	v_rcp_iflag_f32_e32 v3, v3
	s_sub_i32 s50, s3, s0
	v_mul_lo_u32 v2, v1, s44
	v_add_u32_e32 v5, 1, v1
	v_mul_f32_e32 v3, 0x4f7ffffe, v3
	v_cvt_u32_f32_e32 v3, v3
	v_sub_u32_e32 v2, v4, v2
	v_cmp_le_u32_e32 vcc, s44, v2
	v_cndmask_b32_e32 v1, v1, v5, vcc
	v_subrev_u32_e32 v5, s44, v2
	v_cndmask_b32_e32 v2, v2, v5, vcc
	v_mul_lo_u32 v5, s4, v3
	v_cmp_le_u32_e32 vcc, s44, v2
	v_add_u32_e32 v6, 1, v1
	v_cndmask_b32_e32 v1, v1, v6, vcc
	v_mul_hi_u32 v2, v3, v5
	v_xor_b32_e32 v1, s45, v1
	v_subrev_u32_e32 v5, s45, v1
	v_mul_lo_u32 v1, v5, s25
	v_add_u32_e32 v2, v3, v2
	v_mul_hi_u32 v2, v10, v2
	s_ashr_i32 s0, s27, 31
	v_sub_u32_e32 v6, v4, v1
	v_mul_lo_u32 v1, v2, s1
	v_add_u32_e32 v3, 1, v2
	v_sub_u32_e32 v1, v10, v1
	v_cmp_le_u32_e32 vcc, s1, v1
	v_cndmask_b32_e32 v2, v2, v3, vcc
	v_subrev_u32_e32 v3, s1, v1
	v_cndmask_b32_e32 v1, v1, v3, vcc
	v_add_u32_e32 v3, 1, v2
	v_cmp_le_u32_e32 vcc, s1, v1
	v_cndmask_b32_e32 v1, v2, v3, vcc
	v_xor_b32_e32 v1, s0, v1
	v_subrev_u32_e32 v8, s0, v1
	v_mul_lo_u32 v1, v8, s27
	s_mul_i32 s0, s20, s2
	s_sub_i32 s51, s0, s15
	v_cmp_gt_i32_e64 s[0:1], s26, v8
	v_sub_u32_e32 v9, v10, v1
	s_mov_b64 s[14:15], 0
	v_mov_b32_e32 v10, 0
	s_branch .LBB40_6
.LBB40_3:                               ;   in Loop: Header=BB40_6 Depth=1
	s_or_b64 exec, exec, s[42:43]
.LBB40_4:                               ;   in Loop: Header=BB40_6 Depth=1
	s_or_b64 exec, exec, s[40:41]
.LBB40_5:                               ;   in Loop: Header=BB40_6 Depth=1
	s_or_b64 exec, exec, s[16:17]
	v_add_u32_e32 v4, s48, v4
	v_cmp_le_i32_e32 vcc, s47, v4
	s_or_b64 s[14:15], vcc, s[14:15]
	v_add_u32_e32 v6, s48, v6
	s_andn2_b64 exec, exec, s[14:15]
	s_cbranch_execz .LBB40_22
.LBB40_6:                               ; =>This Loop Header: Depth=1
                                        ;     Child Loop BB40_8 Depth 2
                                        ;     Child Loop BB40_14 Depth 2
                                        ;       Child Loop BB40_20 Depth 3
	v_cmp_le_i32_e32 vcc, s25, v6
	s_and_saveexec_b64 s[2:3], vcc
	s_cbranch_execz .LBB40_10
; %bb.7:                                ;   in Loop: Header=BB40_6 Depth=1
	s_mov_b64 s[4:5], 0
.LBB40_8:                               ;   Parent Loop BB40_6 Depth=1
                                        ; =>  This Inner Loop Header: Depth=2
	v_subrev_u32_e32 v6, s25, v6
	v_cmp_gt_i32_e32 vcc, s25, v6
	s_or_b64 s[4:5], vcc, s[4:5]
	v_add_u32_e32 v5, 1, v5
	s_andn2_b64 exec, exec, s[4:5]
	s_cbranch_execnz .LBB40_8
; %bb.9:                                ;   in Loop: Header=BB40_6 Depth=1
	s_or_b64 exec, exec, s[4:5]
.LBB40_10:                              ;   in Loop: Header=BB40_6 Depth=1
	s_or_b64 exec, exec, s[2:3]
	v_mul_lo_u32 v1, v6, s11
	v_add_u32_e32 v1, s29, v1
	v_cmp_lt_i32_e32 vcc, -1, v1
	v_cmp_gt_i32_e64 s[2:3], s21, v1
	s_and_b64 s[2:3], vcc, s[2:3]
	s_and_saveexec_b64 s[16:17], s[2:3]
	s_cbranch_execz .LBB40_5
; %bb.11:                               ;   in Loop: Header=BB40_6 Depth=1
	s_and_saveexec_b64 s[40:41], s[0:1]
	s_cbranch_execz .LBB40_4
; %bb.12:                               ;   in Loop: Header=BB40_6 Depth=1
	v_mul_lo_u32 v2, s36, v5
	v_mul_lo_u32 v1, s38, v1
	;; [unrolled: 1-line block ×3, first 2 shown]
	v_mov_b32_e32 v12, s49
	v_ashrrev_i32_e32 v3, 31, v2
	v_lshlrev_b64 v[2:3], 1, v[2:3]
	v_ashrrev_i32_e32 v15, 31, v14
	v_add_co_u32_e32 v13, vcc, s37, v2
	v_ashrrev_i32_e32 v2, 31, v1
	v_lshlrev_b64 v[1:2], 1, v[1:2]
	v_addc_co_u32_e32 v3, vcc, v12, v3, vcc
	v_add_co_u32_e32 v12, vcc, v13, v1
	v_addc_co_u32_e32 v13, vcc, v3, v2, vcc
	v_lshlrev_b64 v[1:2], 1, v[14:15]
	v_mul_lo_u32 v14, s30, v6
	v_mov_b32_e32 v3, s39
	v_add_co_u32_e32 v16, vcc, s31, v1
	v_ashrrev_i32_e32 v15, 31, v14
	v_addc_co_u32_e32 v3, vcc, v3, v2, vcc
	v_lshlrev_b64 v[1:2], 1, v[14:15]
	s_mov_b64 s[42:43], 0
	v_add_co_u32_e32 v1, vcc, v16, v1
	v_addc_co_u32_e32 v2, vcc, v3, v2, vcc
	v_add_co_u32_e32 v1, vcc, v1, v11
	v_addc_co_u32_e32 v2, vcc, 0, v2, vcc
	v_mov_b32_e32 v14, v9
	v_mov_b32_e32 v15, v8
	s_branch .LBB40_14
.LBB40_13:                              ;   in Loop: Header=BB40_14 Depth=2
	s_or_b64 exec, exec, s[2:3]
	v_add_co_u32_e32 v1, vcc, 0x80, v1
	v_addc_co_u32_e32 v2, vcc, 0, v2, vcc
	v_cmp_le_i32_e32 vcc, s26, v15
	s_or_b64 s[42:43], vcc, s[42:43]
	s_waitcnt vmcnt(0)
	v_fma_mix_f32 v10, v17, v16, v10 op_sel_hi:[0,1,0]
	s_andn2_b64 exec, exec, s[42:43]
	s_cbranch_execz .LBB40_3
.LBB40_14:                              ;   Parent Loop BB40_6 Depth=1
                                        ; =>  This Loop Header: Depth=2
                                        ;       Child Loop BB40_20 Depth 3
	global_load_ushort v16, v[1:2], off
	v_mul_lo_u32 v3, v14, s13
	v_mov_b32_e32 v17, 0
	v_add_u32_e32 v3, s50, v3
	v_cmp_lt_i32_e32 vcc, -1, v3
	s_and_saveexec_b64 s[44:45], vcc
	s_cbranch_execz .LBB40_18
; %bb.15:                               ;   in Loop: Header=BB40_14 Depth=2
	v_mul_lo_u32 v17, v15, s12
	v_cmp_gt_i32_e32 vcc, s23, v3
	v_add_u32_e32 v18, s51, v17
	v_cmp_gt_i32_e64 s[4:5], s22, v18
	v_cmp_lt_i32_e64 s[2:3], -1, v18
	s_and_b64 s[4:5], vcc, s[4:5]
	s_and_b64 s[4:5], s[4:5], s[2:3]
	v_mov_b32_e32 v17, 0
	s_and_saveexec_b64 s[2:3], s[4:5]
	s_cbranch_execz .LBB40_17
; %bb.16:                               ;   in Loop: Header=BB40_14 Depth=2
	v_mad_u64_u32 v[17:18], s[4:5], v18, s23, v[3:4]
	v_mov_b32_e32 v18, v7
	v_lshlrev_b64 v[17:18], 1, v[17:18]
	v_add_co_u32_e32 v17, vcc, v12, v17
	v_addc_co_u32_e32 v18, vcc, v13, v18, vcc
	global_load_ushort v3, v[17:18], off
	s_waitcnt vmcnt(0)
	v_cvt_f32_f16_e32 v17, v3
.LBB40_17:                              ;   in Loop: Header=BB40_14 Depth=2
	s_or_b64 exec, exec, s[2:3]
.LBB40_18:                              ;   in Loop: Header=BB40_14 Depth=2
	s_or_b64 exec, exec, s[44:45]
	v_add_u32_e32 v14, 64, v14
	v_cmp_le_i32_e32 vcc, s27, v14
	s_and_saveexec_b64 s[2:3], vcc
	s_cbranch_execz .LBB40_13
; %bb.19:                               ;   in Loop: Header=BB40_14 Depth=2
	s_mov_b64 s[4:5], 0
.LBB40_20:                              ;   Parent Loop BB40_6 Depth=1
                                        ;     Parent Loop BB40_14 Depth=2
                                        ; =>    This Inner Loop Header: Depth=3
	v_subrev_u32_e32 v14, s27, v14
	v_cmp_gt_i32_e32 vcc, s27, v14
	s_or_b64 s[4:5], vcc, s[4:5]
	v_add_u32_e32 v15, 1, v15
	s_andn2_b64 exec, exec, s[4:5]
	s_cbranch_execnz .LBB40_20
; %bb.21:                               ;   in Loop: Header=BB40_14 Depth=2
	s_or_b64 exec, exec, s[4:5]
	s_branch .LBB40_13
.LBB40_22:
	s_or_b64 exec, exec, s[14:15]
	v_cvt_f16_f32_e32 v2, v10
.LBB40_23:
	s_or_b64 exec, exec, s[6:7]
	s_bcnt1_i32_b32 s0, s46
	v_lshl_add_u32 v1, v0, 1, 0
	s_cmp_lg_u32 s0, 1
	s_mov_b64 s[0:1], -1
	ds_write_b16 v1, v2
	s_waitcnt lgkmcnt(0)
	s_barrier
	s_cbranch_scc1 .LBB40_32
; %bb.24:
	s_andn2_b64 vcc, exec, s[0:1]
	s_cbranch_vccnz .LBB40_28
.LBB40_25:
	s_cmp_lt_u32 s46, 2
	s_cbranch_scc0 .LBB40_30
.LBB40_26:
	v_cmp_eq_u32_e32 vcc, 0, v0
	s_and_saveexec_b64 s[0:1], vcc
	s_cbranch_execz .LBB40_28
; %bb.27:
	s_mul_i32 s0, s19, s33
	s_ashr_i32 s1, s0, 31
	s_lshl_b64 s[0:1], s[0:1], 1
	s_add_u32 s2, s34, s0
	s_mul_i32 s0, s8, s24
	s_addc_u32 s3, s35, s1
	s_ashr_i32 s1, s0, 31
	s_lshl_b64 s[0:1], s[0:1], 1
	s_add_u32 s2, s2, s0
	s_mul_i32 s0, s9, s20
	s_addc_u32 s3, s3, s1
	s_ashr_i32 s1, s0, 31
	s_lshl_b64 s[0:1], s[0:1], 1
	v_mov_b32_e32 v0, 0
	s_add_u32 s2, s2, s0
	s_mul_i32 s0, s10, s18
	ds_read_u16 v1, v0
	s_addc_u32 s3, s3, s1
	s_ashr_i32 s1, s0, 31
	s_lshl_b64 s[0:1], s[0:1], 1
	s_add_u32 s0, s2, s0
	s_addc_u32 s1, s3, s1
	s_waitcnt lgkmcnt(0)
	global_store_short v0, v1, s[0:1]
.LBB40_28:
	s_endpgm
.LBB40_29:                              ;   in Loop: Header=BB40_30 Depth=1
	s_or_b64 exec, exec, s[0:1]
	s_cmp_lt_u32 s46, 4
	s_mov_b32 s46, s2
	s_waitcnt lgkmcnt(0)
	s_barrier
	s_cbranch_scc1 .LBB40_26
.LBB40_30:                              ; =>This Inner Loop Header: Depth=1
	s_lshr_b32 s2, s46, 1
	v_cmp_gt_u32_e32 vcc, s2, v0
	s_and_saveexec_b64 s[0:1], vcc
	s_cbranch_execz .LBB40_29
; %bb.31:                               ;   in Loop: Header=BB40_30 Depth=1
	v_lshl_add_u32 v2, s2, 1, v1
	ds_read_u16 v2, v2
	ds_read_u16 v3, v1
	s_waitcnt lgkmcnt(0)
	v_add_f16_e32 v2, v2, v3
	ds_write_b16 v1, v2
	s_branch .LBB40_29
.LBB40_32:
	s_trap 2
	; divergent unreachable
	s_cbranch_execz .LBB40_25
	s_branch .LBB40_28
	.section	.rodata,"a",@progbits
	.p2align	6, 0x0
	.amdhsa_kernel _ZN2at6native12_GLOBAL__N_144conv_depthwise3d_cuda_backward_weight_kernelIN3c104HalfEfLin1ELin1EEEvN5torch10headeronly6detail27GenericPackedTensorAccessorINS7_14TensorAccessorINS3_8ArrayRefIlEEKT_Lm4ENS6_16DefaultPtrTraitsEiEENS_6detail16IndexBoundsCheckILm5EiEESD_Lm5ESE_iEESJ_NS8_INS9_ISB_SC_Lm4ESE_iEESI_SC_Lm5ESE_iEEiiiiiiiii
		.amdhsa_group_segment_fixed_size 0
		.amdhsa_private_segment_fixed_size 0
		.amdhsa_kernarg_size 440
		.amdhsa_user_sgpr_count 6
		.amdhsa_user_sgpr_private_segment_buffer 1
		.amdhsa_user_sgpr_dispatch_ptr 0
		.amdhsa_user_sgpr_queue_ptr 0
		.amdhsa_user_sgpr_kernarg_segment_ptr 1
		.amdhsa_user_sgpr_dispatch_id 0
		.amdhsa_user_sgpr_flat_scratch_init 0
		.amdhsa_user_sgpr_private_segment_size 0
		.amdhsa_uses_dynamic_stack 0
		.amdhsa_system_sgpr_private_segment_wavefront_offset 0
		.amdhsa_system_sgpr_workgroup_id_x 1
		.amdhsa_system_sgpr_workgroup_id_y 0
		.amdhsa_system_sgpr_workgroup_id_z 0
		.amdhsa_system_sgpr_workgroup_info 0
		.amdhsa_system_vgpr_workitem_id 0
		.amdhsa_next_free_vgpr 19
		.amdhsa_next_free_sgpr 52
		.amdhsa_reserve_vcc 1
		.amdhsa_reserve_flat_scratch 0
		.amdhsa_float_round_mode_32 0
		.amdhsa_float_round_mode_16_64 0
		.amdhsa_float_denorm_mode_32 3
		.amdhsa_float_denorm_mode_16_64 3
		.amdhsa_dx10_clamp 1
		.amdhsa_ieee_mode 1
		.amdhsa_fp16_overflow 0
		.amdhsa_exception_fp_ieee_invalid_op 0
		.amdhsa_exception_fp_denorm_src 0
		.amdhsa_exception_fp_ieee_div_zero 0
		.amdhsa_exception_fp_ieee_overflow 0
		.amdhsa_exception_fp_ieee_underflow 0
		.amdhsa_exception_fp_ieee_inexact 0
		.amdhsa_exception_int_div_zero 0
	.end_amdhsa_kernel
	.section	.text._ZN2at6native12_GLOBAL__N_144conv_depthwise3d_cuda_backward_weight_kernelIN3c104HalfEfLin1ELin1EEEvN5torch10headeronly6detail27GenericPackedTensorAccessorINS7_14TensorAccessorINS3_8ArrayRefIlEEKT_Lm4ENS6_16DefaultPtrTraitsEiEENS_6detail16IndexBoundsCheckILm5EiEESD_Lm5ESE_iEESJ_NS8_INS9_ISB_SC_Lm4ESE_iEESI_SC_Lm5ESE_iEEiiiiiiiii,"axG",@progbits,_ZN2at6native12_GLOBAL__N_144conv_depthwise3d_cuda_backward_weight_kernelIN3c104HalfEfLin1ELin1EEEvN5torch10headeronly6detail27GenericPackedTensorAccessorINS7_14TensorAccessorINS3_8ArrayRefIlEEKT_Lm4ENS6_16DefaultPtrTraitsEiEENS_6detail16IndexBoundsCheckILm5EiEESD_Lm5ESE_iEESJ_NS8_INS9_ISB_SC_Lm4ESE_iEESI_SC_Lm5ESE_iEEiiiiiiiii,comdat
.Lfunc_end40:
	.size	_ZN2at6native12_GLOBAL__N_144conv_depthwise3d_cuda_backward_weight_kernelIN3c104HalfEfLin1ELin1EEEvN5torch10headeronly6detail27GenericPackedTensorAccessorINS7_14TensorAccessorINS3_8ArrayRefIlEEKT_Lm4ENS6_16DefaultPtrTraitsEiEENS_6detail16IndexBoundsCheckILm5EiEESD_Lm5ESE_iEESJ_NS8_INS9_ISB_SC_Lm4ESE_iEESI_SC_Lm5ESE_iEEiiiiiiiii, .Lfunc_end40-_ZN2at6native12_GLOBAL__N_144conv_depthwise3d_cuda_backward_weight_kernelIN3c104HalfEfLin1ELin1EEEvN5torch10headeronly6detail27GenericPackedTensorAccessorINS7_14TensorAccessorINS3_8ArrayRefIlEEKT_Lm4ENS6_16DefaultPtrTraitsEiEENS_6detail16IndexBoundsCheckILm5EiEESD_Lm5ESE_iEESJ_NS8_INS9_ISB_SC_Lm4ESE_iEESI_SC_Lm5ESE_iEEiiiiiiiii
                                        ; -- End function
	.set _ZN2at6native12_GLOBAL__N_144conv_depthwise3d_cuda_backward_weight_kernelIN3c104HalfEfLin1ELin1EEEvN5torch10headeronly6detail27GenericPackedTensorAccessorINS7_14TensorAccessorINS3_8ArrayRefIlEEKT_Lm4ENS6_16DefaultPtrTraitsEiEENS_6detail16IndexBoundsCheckILm5EiEESD_Lm5ESE_iEESJ_NS8_INS9_ISB_SC_Lm4ESE_iEESI_SC_Lm5ESE_iEEiiiiiiiii.num_vgpr, 19
	.set _ZN2at6native12_GLOBAL__N_144conv_depthwise3d_cuda_backward_weight_kernelIN3c104HalfEfLin1ELin1EEEvN5torch10headeronly6detail27GenericPackedTensorAccessorINS7_14TensorAccessorINS3_8ArrayRefIlEEKT_Lm4ENS6_16DefaultPtrTraitsEiEENS_6detail16IndexBoundsCheckILm5EiEESD_Lm5ESE_iEESJ_NS8_INS9_ISB_SC_Lm4ESE_iEESI_SC_Lm5ESE_iEEiiiiiiiii.num_agpr, 0
	.set _ZN2at6native12_GLOBAL__N_144conv_depthwise3d_cuda_backward_weight_kernelIN3c104HalfEfLin1ELin1EEEvN5torch10headeronly6detail27GenericPackedTensorAccessorINS7_14TensorAccessorINS3_8ArrayRefIlEEKT_Lm4ENS6_16DefaultPtrTraitsEiEENS_6detail16IndexBoundsCheckILm5EiEESD_Lm5ESE_iEESJ_NS8_INS9_ISB_SC_Lm4ESE_iEESI_SC_Lm5ESE_iEEiiiiiiiii.numbered_sgpr, 52
	.set _ZN2at6native12_GLOBAL__N_144conv_depthwise3d_cuda_backward_weight_kernelIN3c104HalfEfLin1ELin1EEEvN5torch10headeronly6detail27GenericPackedTensorAccessorINS7_14TensorAccessorINS3_8ArrayRefIlEEKT_Lm4ENS6_16DefaultPtrTraitsEiEENS_6detail16IndexBoundsCheckILm5EiEESD_Lm5ESE_iEESJ_NS8_INS9_ISB_SC_Lm4ESE_iEESI_SC_Lm5ESE_iEEiiiiiiiii.num_named_barrier, 0
	.set _ZN2at6native12_GLOBAL__N_144conv_depthwise3d_cuda_backward_weight_kernelIN3c104HalfEfLin1ELin1EEEvN5torch10headeronly6detail27GenericPackedTensorAccessorINS7_14TensorAccessorINS3_8ArrayRefIlEEKT_Lm4ENS6_16DefaultPtrTraitsEiEENS_6detail16IndexBoundsCheckILm5EiEESD_Lm5ESE_iEESJ_NS8_INS9_ISB_SC_Lm4ESE_iEESI_SC_Lm5ESE_iEEiiiiiiiii.private_seg_size, 0
	.set _ZN2at6native12_GLOBAL__N_144conv_depthwise3d_cuda_backward_weight_kernelIN3c104HalfEfLin1ELin1EEEvN5torch10headeronly6detail27GenericPackedTensorAccessorINS7_14TensorAccessorINS3_8ArrayRefIlEEKT_Lm4ENS6_16DefaultPtrTraitsEiEENS_6detail16IndexBoundsCheckILm5EiEESD_Lm5ESE_iEESJ_NS8_INS9_ISB_SC_Lm4ESE_iEESI_SC_Lm5ESE_iEEiiiiiiiii.uses_vcc, 1
	.set _ZN2at6native12_GLOBAL__N_144conv_depthwise3d_cuda_backward_weight_kernelIN3c104HalfEfLin1ELin1EEEvN5torch10headeronly6detail27GenericPackedTensorAccessorINS7_14TensorAccessorINS3_8ArrayRefIlEEKT_Lm4ENS6_16DefaultPtrTraitsEiEENS_6detail16IndexBoundsCheckILm5EiEESD_Lm5ESE_iEESJ_NS8_INS9_ISB_SC_Lm4ESE_iEESI_SC_Lm5ESE_iEEiiiiiiiii.uses_flat_scratch, 0
	.set _ZN2at6native12_GLOBAL__N_144conv_depthwise3d_cuda_backward_weight_kernelIN3c104HalfEfLin1ELin1EEEvN5torch10headeronly6detail27GenericPackedTensorAccessorINS7_14TensorAccessorINS3_8ArrayRefIlEEKT_Lm4ENS6_16DefaultPtrTraitsEiEENS_6detail16IndexBoundsCheckILm5EiEESD_Lm5ESE_iEESJ_NS8_INS9_ISB_SC_Lm4ESE_iEESI_SC_Lm5ESE_iEEiiiiiiiii.has_dyn_sized_stack, 0
	.set _ZN2at6native12_GLOBAL__N_144conv_depthwise3d_cuda_backward_weight_kernelIN3c104HalfEfLin1ELin1EEEvN5torch10headeronly6detail27GenericPackedTensorAccessorINS7_14TensorAccessorINS3_8ArrayRefIlEEKT_Lm4ENS6_16DefaultPtrTraitsEiEENS_6detail16IndexBoundsCheckILm5EiEESD_Lm5ESE_iEESJ_NS8_INS9_ISB_SC_Lm4ESE_iEESI_SC_Lm5ESE_iEEiiiiiiiii.has_recursion, 0
	.set _ZN2at6native12_GLOBAL__N_144conv_depthwise3d_cuda_backward_weight_kernelIN3c104HalfEfLin1ELin1EEEvN5torch10headeronly6detail27GenericPackedTensorAccessorINS7_14TensorAccessorINS3_8ArrayRefIlEEKT_Lm4ENS6_16DefaultPtrTraitsEiEENS_6detail16IndexBoundsCheckILm5EiEESD_Lm5ESE_iEESJ_NS8_INS9_ISB_SC_Lm4ESE_iEESI_SC_Lm5ESE_iEEiiiiiiiii.has_indirect_call, 0
	.section	.AMDGPU.csdata,"",@progbits
; Kernel info:
; codeLenInByte = 1812
; TotalNumSgprs: 56
; NumVgprs: 19
; ScratchSize: 0
; MemoryBound: 0
; FloatMode: 240
; IeeeMode: 1
; LDSByteSize: 0 bytes/workgroup (compile time only)
; SGPRBlocks: 6
; VGPRBlocks: 4
; NumSGPRsForWavesPerEU: 56
; NumVGPRsForWavesPerEU: 19
; Occupancy: 10
; WaveLimiterHint : 1
; COMPUTE_PGM_RSRC2:SCRATCH_EN: 0
; COMPUTE_PGM_RSRC2:USER_SGPR: 6
; COMPUTE_PGM_RSRC2:TRAP_HANDLER: 0
; COMPUTE_PGM_RSRC2:TGID_X_EN: 1
; COMPUTE_PGM_RSRC2:TGID_Y_EN: 0
; COMPUTE_PGM_RSRC2:TGID_Z_EN: 0
; COMPUTE_PGM_RSRC2:TIDIG_COMP_CNT: 0
	.section	.text._ZN2at6native12_GLOBAL__N_144conv_depthwise3d_cuda_backward_weight_kernelIN3c108BFloat16EfLi1ELi1EEEvN5torch10headeronly6detail27GenericPackedTensorAccessorINS7_14TensorAccessorINS3_8ArrayRefIlEEKT_Lm4ENS6_16DefaultPtrTraitsEiEENS_6detail16IndexBoundsCheckILm5EiEESD_Lm5ESE_iEESJ_NS8_INS9_ISB_SC_Lm4ESE_iEESI_SC_Lm5ESE_iEEiiiiiiiii,"axG",@progbits,_ZN2at6native12_GLOBAL__N_144conv_depthwise3d_cuda_backward_weight_kernelIN3c108BFloat16EfLi1ELi1EEEvN5torch10headeronly6detail27GenericPackedTensorAccessorINS7_14TensorAccessorINS3_8ArrayRefIlEEKT_Lm4ENS6_16DefaultPtrTraitsEiEENS_6detail16IndexBoundsCheckILm5EiEESD_Lm5ESE_iEESJ_NS8_INS9_ISB_SC_Lm4ESE_iEESI_SC_Lm5ESE_iEEiiiiiiiii,comdat
	.globl	_ZN2at6native12_GLOBAL__N_144conv_depthwise3d_cuda_backward_weight_kernelIN3c108BFloat16EfLi1ELi1EEEvN5torch10headeronly6detail27GenericPackedTensorAccessorINS7_14TensorAccessorINS3_8ArrayRefIlEEKT_Lm4ENS6_16DefaultPtrTraitsEiEENS_6detail16IndexBoundsCheckILm5EiEESD_Lm5ESE_iEESJ_NS8_INS9_ISB_SC_Lm4ESE_iEESI_SC_Lm5ESE_iEEiiiiiiiii ; -- Begin function _ZN2at6native12_GLOBAL__N_144conv_depthwise3d_cuda_backward_weight_kernelIN3c108BFloat16EfLi1ELi1EEEvN5torch10headeronly6detail27GenericPackedTensorAccessorINS7_14TensorAccessorINS3_8ArrayRefIlEEKT_Lm4ENS6_16DefaultPtrTraitsEiEENS_6detail16IndexBoundsCheckILm5EiEESD_Lm5ESE_iEESJ_NS8_INS9_ISB_SC_Lm4ESE_iEESI_SC_Lm5ESE_iEEiiiiiiiii
	.p2align	8
	.type	_ZN2at6native12_GLOBAL__N_144conv_depthwise3d_cuda_backward_weight_kernelIN3c108BFloat16EfLi1ELi1EEEvN5torch10headeronly6detail27GenericPackedTensorAccessorINS7_14TensorAccessorINS3_8ArrayRefIlEEKT_Lm4ENS6_16DefaultPtrTraitsEiEENS_6detail16IndexBoundsCheckILm5EiEESD_Lm5ESE_iEESJ_NS8_INS9_ISB_SC_Lm4ESE_iEESI_SC_Lm5ESE_iEEiiiiiiiii,@function
_ZN2at6native12_GLOBAL__N_144conv_depthwise3d_cuda_backward_weight_kernelIN3c108BFloat16EfLi1ELi1EEEvN5torch10headeronly6detail27GenericPackedTensorAccessorINS7_14TensorAccessorINS3_8ArrayRefIlEEKT_Lm4ENS6_16DefaultPtrTraitsEiEENS_6detail16IndexBoundsCheckILm5EiEESD_Lm5ESE_iEESJ_NS8_INS9_ISB_SC_Lm4ESE_iEESI_SC_Lm5ESE_iEEiiiiiiiii: ; @_ZN2at6native12_GLOBAL__N_144conv_depthwise3d_cuda_backward_weight_kernelIN3c108BFloat16EfLi1ELi1EEEvN5torch10headeronly6detail27GenericPackedTensorAccessorINS7_14TensorAccessorINS3_8ArrayRefIlEEKT_Lm4ENS6_16DefaultPtrTraitsEiEENS_6detail16IndexBoundsCheckILm5EiEESD_Lm5ESE_iEESJ_NS8_INS9_ISB_SC_Lm4ESE_iEESI_SC_Lm5ESE_iEEiiiiiiiii
; %bb.0:
	s_load_dwordx4 s[8:11], s[4:5], 0x70
	s_add_u32 s0, s4, 0x60
	s_addc_u32 s1, s5, 0
	s_load_dwordx4 s[16:19], s[4:5], 0x3c
	s_load_dwordx4 s[20:23], s[4:5], 0xc
	s_waitcnt lgkmcnt(0)
	v_cvt_f32_u32_e32 v1, s10
	v_cvt_f32_u32_e32 v2, s9
	s_sub_i32 s2, 0, s10
	v_rcp_iflag_f32_e32 v1, v1
	v_rcp_iflag_f32_e32 v2, v2
	v_mul_f32_e32 v1, 0x4f7ffffe, v1
	v_cvt_u32_f32_e32 v1, v1
	v_mul_f32_e32 v2, 0x4f7ffffe, v2
	v_cvt_u32_f32_e32 v2, v2
	v_readfirstlane_b32 s3, v1
	s_mul_i32 s2, s2, s3
	s_mul_hi_u32 s2, s3, s2
	s_add_i32 s3, s3, s2
	s_mul_hi_u32 s2, s6, s3
	s_mul_i32 s3, s2, s10
	s_sub_i32 s3, s6, s3
	s_add_i32 s12, s2, 1
	s_sub_i32 s13, s3, s10
	s_cmp_ge_u32 s3, s10
	s_cselect_b32 s2, s12, s2
	s_cselect_b32 s3, s13, s3
	s_add_i32 s12, s2, 1
	s_cmp_ge_u32 s3, s10
	v_cvt_f32_u32_e32 v1, s8
	v_readfirstlane_b32 s7, v2
	s_cselect_b32 s2, s12, s2
	s_sub_i32 s3, 0, s9
	s_mul_i32 s3, s3, s7
	s_mul_hi_u32 s3, s7, s3
	s_add_i32 s7, s7, s3
	v_rcp_iflag_f32_e32 v1, v1
	s_mul_hi_u32 s3, s2, s7
	s_mul_i32 s7, s3, s9
	s_sub_i32 s7, s2, s7
	s_add_i32 s12, s3, 1
	s_sub_i32 s13, s7, s9
	v_mul_f32_e32 v1, 0x4f7ffffe, v1
	s_cmp_ge_u32 s7, s9
	v_cvt_u32_f32_e32 v1, v1
	s_cselect_b32 s3, s12, s3
	s_cselect_b32 s7, s13, s7
	s_add_i32 s12, s3, 1
	s_cmp_ge_u32 s7, s9
	s_cselect_b32 s3, s12, s3
	s_sub_i32 s7, 0, s8
	v_readfirstlane_b32 s12, v1
	s_mul_i32 s7, s7, s12
	s_mul_hi_u32 s7, s12, s7
	s_add_i32 s12, s12, s7
	s_mul_hi_u32 s7, s3, s12
	s_mul_i32 s12, s7, s8
	s_sub_i32 s12, s3, s12
	s_add_i32 s13, s7, 1
	s_sub_i32 s14, s12, s8
	s_cmp_ge_u32 s12, s8
	s_cselect_b32 s7, s13, s7
	s_cselect_b32 s12, s14, s12
	s_add_i32 s13, s7, 1
	s_cmp_ge_u32 s12, s8
	s_cselect_b32 s33, s13, s7
	s_abs_i32 s7, s16
	v_cvt_f32_u32_e32 v1, s7
	s_sub_i32 s14, 0, s7
	s_abs_i32 s13, s20
	s_xor_b32 s12, s20, s16
	v_rcp_iflag_f32_e32 v1, v1
	s_ashr_i32 s12, s12, 31
	v_mul_f32_e32 v1, 0x4f7ffffe, v1
	v_cvt_u32_f32_e32 v1, v1
	v_readfirstlane_b32 s15, v1
	s_mul_i32 s14, s14, s15
	s_mul_hi_u32 s14, s15, s14
	s_add_i32 s15, s15, s14
	s_mul_hi_u32 s14, s13, s15
	s_mul_i32 s15, s14, s7
	s_sub_i32 s13, s13, s15
	s_add_i32 s15, s14, 1
	s_sub_i32 s16, s13, s7
	s_cmp_ge_u32 s13, s7
	s_cselect_b32 s14, s15, s14
	s_cselect_b32 s13, s16, s13
	s_add_i32 s15, s14, 1
	s_cmp_ge_u32 s13, s7
	s_cselect_b32 s7, s15, s14
	s_xor_b32 s7, s7, s12
	s_sub_i32 s25, s7, s12
	s_abs_i32 s24, s25
	v_cvt_f32_u32_e32 v1, s24
	s_load_dword s7, s[4:5], 0x68
	v_rcp_iflag_f32_e32 v1, v1
	s_waitcnt lgkmcnt(0)
	s_cmp_ge_i32 s33, s7
	v_mul_f32_e32 v1, 0x4f7ffffe, v1
	v_cvt_u32_f32_e32 v1, v1
	v_readfirstlane_b32 s26, v1
	s_cbranch_scc1 .LBB41_32
; %bb.1:
	s_load_dwordx2 s[34:35], s[0:1], 0x0
	s_load_dwordx4 s[12:15], s[0:1], 0x24
	s_mul_i32 s0, s2, s10
	s_sub_i32 s10, s6, s0
	s_mul_i32 s0, s3, s9
	s_sub_i32 s16, s2, s0
	s_load_dword s0, s[4:5], 0xc4
	s_load_dword s45, s[4:5], 0x38
	s_mul_i32 s1, s33, s8
	v_lshrrev_b32_e32 v4, 6, v0
	s_sub_i32 s20, s3, s1
	s_waitcnt lgkmcnt(0)
	s_and_b32 s44, s0, 0xffff
	s_mul_i32 s45, s45, s21
	v_cmp_gt_i32_e32 vcc, s45, v4
	v_mov_b32_e32 v8, 0
	s_and_saveexec_b64 s[6:7], vcc
	s_cbranch_execz .LBB41_23
; %bb.2:
	s_sub_i32 s3, 0, s24
	s_mul_i32 s3, s3, s26
	s_mul_hi_u32 s3, s26, s3
	s_abs_i32 s2, s33
	s_add_i32 s26, s26, s3
	s_ashr_i32 s0, s33, 31
	s_ashr_i32 s1, s25, 31
	s_mul_hi_u32 s3, s2, s26
	s_xor_b32 s28, s0, s1
	s_mul_i32 s0, s3, s24
	s_sub_i32 s0, s2, s0
	s_lshr_b32 s46, s44, 6
	s_add_i32 s1, s3, 1
	s_sub_i32 s2, s0, s24
	s_cmp_ge_u32 s0, s24
	s_cselect_b32 s1, s1, s3
	s_cselect_b32 s0, s2, s0
	s_add_i32 s2, s1, 1
	s_cmp_ge_u32 s0, s24
	s_cselect_b32 s29, s2, s1
	s_abs_i32 s42, s21
	v_cvt_f32_u32_e32 v1, s42
	s_sub_i32 s0, 0, s42
	s_ashr_i32 s43, s21, 31
	v_and_b32_e32 v8, 63, v0
	v_rcp_iflag_f32_e32 v1, v1
	v_mov_b32_e32 v7, 0
	v_lshlrev_b32_e32 v11, 1, v8
	v_mul_f32_e32 v1, 0x4f7ffffe, v1
	v_cvt_u32_f32_e32 v1, v1
	v_mul_lo_u32 v2, s0, v1
	s_load_dwordx4 s[0:3], s[4:5], 0x9c
	s_load_dwordx2 s[8:9], s[4:5], 0xac
	s_load_dwordx2 s[36:37], s[4:5], 0x0
	s_load_dwordx4 s[24:27], s[4:5], 0x1c
	v_mul_hi_u32 v2, v1, v2
	s_waitcnt lgkmcnt(0)
	s_mul_i32 s3, s20, s3
	s_sub_i32 s27, s3, s0
	s_xor_b32 s0, s29, s28
	s_sub_i32 s0, s0, s28
	s_load_dwordx2 s[40:41], s[4:5], 0x30
	s_load_dwordx4 s[28:31], s[4:5], 0x4c
	s_mul_i32 s38, s25, s33
	s_ashr_i32 s39, s38, 31
	s_lshl_b64 s[4:5], s[38:39], 1
	s_add_u32 s25, s36, s4
	s_waitcnt lgkmcnt(0)
	s_mul_i32 s4, s29, s0
	s_addc_u32 s31, s37, s5
	s_ashr_i32 s5, s4, 31
	s_lshl_b64 s[4:5], s[4:5], 1
	s_add_u32 s29, s40, s4
	s_addc_u32 s47, s41, s5
	s_abs_i32 s0, s23
	v_cvt_f32_u32_e32 v3, s0
	v_add_u32_e32 v1, v1, v2
	v_mul_hi_u32 v1, v4, v1
	s_sub_i32 s3, 0, s0
	v_rcp_iflag_f32_e32 v3, v3
	v_mul_lo_u32 v2, v1, s42
	v_add_u32_e32 v5, 1, v1
	v_mul_f32_e32 v3, 0x4f7ffffe, v3
	v_cvt_u32_f32_e32 v3, v3
	v_sub_u32_e32 v2, v4, v2
	v_cmp_le_u32_e32 vcc, s42, v2
	v_cndmask_b32_e32 v1, v1, v5, vcc
	v_subrev_u32_e32 v5, s42, v2
	v_cndmask_b32_e32 v2, v2, v5, vcc
	v_mul_lo_u32 v5, s3, v3
	v_cmp_le_u32_e32 vcc, s42, v2
	v_add_u32_e32 v6, 1, v1
	v_cndmask_b32_e32 v1, v1, v6, vcc
	v_mul_hi_u32 v2, v3, v5
	v_xor_b32_e32 v1, s43, v1
	v_subrev_u32_e32 v5, s43, v1
	v_mul_lo_u32 v1, v5, s21
	v_add_u32_e32 v2, v3, v2
	v_mul_hi_u32 v2, v8, v2
	s_mul_i32 s3, s10, s9
	v_sub_u32_e32 v6, v4, v1
	s_sub_i32 s48, s3, s2
	v_mul_lo_u32 v1, v2, s0
	v_add_u32_e32 v3, 1, v2
	s_ashr_i32 s2, s23, 31
	v_sub_u32_e32 v1, v8, v1
	v_cmp_le_u32_e32 vcc, s0, v1
	v_cndmask_b32_e32 v2, v2, v3, vcc
	v_subrev_u32_e32 v3, s0, v1
	v_cndmask_b32_e32 v1, v1, v3, vcc
	v_add_u32_e32 v3, 1, v2
	v_cmp_le_u32_e32 vcc, s0, v1
	v_cndmask_b32_e32 v1, v2, v3, vcc
	v_xor_b32_e32 v1, s2, v1
	v_subrev_u32_e32 v9, s2, v1
	v_mul_lo_u32 v1, v9, s23
	s_mul_i32 s0, s16, s8
	s_sub_i32 s49, s0, s1
	v_cmp_gt_i32_e64 s[0:1], s22, v9
	v_sub_u32_e32 v10, v8, v1
	s_mov_b64 s[8:9], 0
	v_mov_b32_e32 v8, 0
	s_branch .LBB41_6
.LBB41_3:                               ;   in Loop: Header=BB41_6 Depth=1
	s_or_b64 exec, exec, s[40:41]
.LBB41_4:                               ;   in Loop: Header=BB41_6 Depth=1
	s_or_b64 exec, exec, s[38:39]
.LBB41_5:                               ;   in Loop: Header=BB41_6 Depth=1
	s_or_b64 exec, exec, s[36:37]
	v_add_u32_e32 v4, s46, v4
	v_cmp_le_i32_e32 vcc, s45, v4
	s_or_b64 s[8:9], vcc, s[8:9]
	v_add_u32_e32 v6, s46, v6
	s_andn2_b64 exec, exec, s[8:9]
	s_cbranch_execz .LBB41_22
.LBB41_6:                               ; =>This Loop Header: Depth=1
                                        ;     Child Loop BB41_8 Depth 2
                                        ;     Child Loop BB41_14 Depth 2
                                        ;       Child Loop BB41_20 Depth 3
	v_cmp_le_i32_e32 vcc, s21, v6
	s_and_saveexec_b64 s[2:3], vcc
	s_cbranch_execz .LBB41_10
; %bb.7:                                ;   in Loop: Header=BB41_6 Depth=1
	s_mov_b64 s[4:5], 0
.LBB41_8:                               ;   Parent Loop BB41_6 Depth=1
                                        ; =>  This Inner Loop Header: Depth=2
	v_subrev_u32_e32 v6, s21, v6
	v_cmp_gt_i32_e32 vcc, s21, v6
	s_or_b64 s[4:5], vcc, s[4:5]
	v_add_u32_e32 v5, 1, v5
	s_andn2_b64 exec, exec, s[4:5]
	s_cbranch_execnz .LBB41_8
; %bb.9:                                ;   in Loop: Header=BB41_6 Depth=1
	s_or_b64 exec, exec, s[4:5]
.LBB41_10:                              ;   in Loop: Header=BB41_6 Depth=1
	s_or_b64 exec, exec, s[2:3]
	v_mul_lo_u32 v1, v6, s15
	v_add_u32_e32 v1, s27, v1
	v_cmp_lt_i32_e32 vcc, -1, v1
	v_cmp_gt_i32_e64 s[2:3], s17, v1
	s_and_b64 s[2:3], vcc, s[2:3]
	s_and_saveexec_b64 s[36:37], s[2:3]
	s_cbranch_execz .LBB41_5
; %bb.11:                               ;   in Loop: Header=BB41_6 Depth=1
	s_and_saveexec_b64 s[38:39], s[0:1]
	s_cbranch_execz .LBB41_4
; %bb.12:                               ;   in Loop: Header=BB41_6 Depth=1
	v_mul_lo_u32 v2, s28, v5
	v_mul_lo_u32 v1, s30, v1
	v_mul_lo_u32 v14, s24, v5
	v_mov_b32_e32 v12, s47
	v_ashrrev_i32_e32 v3, 31, v2
	v_lshlrev_b64 v[2:3], 1, v[2:3]
	v_ashrrev_i32_e32 v15, 31, v14
	v_add_co_u32_e32 v13, vcc, s29, v2
	v_ashrrev_i32_e32 v2, 31, v1
	v_lshlrev_b64 v[1:2], 1, v[1:2]
	v_addc_co_u32_e32 v3, vcc, v12, v3, vcc
	v_add_co_u32_e32 v12, vcc, v13, v1
	v_addc_co_u32_e32 v13, vcc, v3, v2, vcc
	v_lshlrev_b64 v[1:2], 1, v[14:15]
	v_mul_lo_u32 v14, s26, v6
	v_mov_b32_e32 v3, s31
	v_add_co_u32_e32 v16, vcc, s25, v1
	v_ashrrev_i32_e32 v15, 31, v14
	v_addc_co_u32_e32 v3, vcc, v3, v2, vcc
	v_lshlrev_b64 v[1:2], 1, v[14:15]
	s_mov_b64 s[40:41], 0
	v_add_co_u32_e32 v1, vcc, v16, v1
	v_addc_co_u32_e32 v2, vcc, v3, v2, vcc
	v_add_co_u32_e32 v1, vcc, v1, v11
	v_addc_co_u32_e32 v2, vcc, 0, v2, vcc
	v_mov_b32_e32 v14, v10
	v_mov_b32_e32 v15, v9
	s_branch .LBB41_14
.LBB41_13:                              ;   in Loop: Header=BB41_14 Depth=2
	s_or_b64 exec, exec, s[2:3]
	v_add_co_u32_e32 v1, vcc, 0x80, v1
	v_addc_co_u32_e32 v2, vcc, 0, v2, vcc
	s_waitcnt vmcnt(0)
	v_lshlrev_b32_e32 v3, 16, v16
	v_cmp_le_i32_e32 vcc, s22, v15
	s_or_b64 s[40:41], vcc, s[40:41]
	v_fmac_f32_e32 v8, v17, v3
	s_andn2_b64 exec, exec, s[40:41]
	s_cbranch_execz .LBB41_3
.LBB41_14:                              ;   Parent Loop BB41_6 Depth=1
                                        ; =>  This Loop Header: Depth=2
                                        ;       Child Loop BB41_20 Depth 3
	global_load_ushort v16, v[1:2], off
	v_add_u32_e32 v3, s48, v14
	v_cmp_lt_i32_e32 vcc, -1, v3
	v_mov_b32_e32 v17, 0
	s_and_saveexec_b64 s[42:43], vcc
	s_cbranch_execz .LBB41_18
; %bb.15:                               ;   in Loop: Header=BB41_14 Depth=2
	v_add_u32_e32 v18, s49, v15
	v_cmp_gt_i32_e32 vcc, s19, v3
	v_cmp_gt_i32_e64 s[4:5], s18, v18
	v_cmp_lt_i32_e64 s[2:3], -1, v18
	s_and_b64 s[4:5], vcc, s[4:5]
	s_and_b64 s[4:5], s[4:5], s[2:3]
	v_mov_b32_e32 v17, 0
	s_and_saveexec_b64 s[2:3], s[4:5]
	s_cbranch_execz .LBB41_17
; %bb.16:                               ;   in Loop: Header=BB41_14 Depth=2
	v_mad_u64_u32 v[17:18], s[4:5], v18, s19, v[3:4]
	v_mov_b32_e32 v18, v7
	v_lshlrev_b64 v[17:18], 1, v[17:18]
	v_add_co_u32_e32 v17, vcc, v12, v17
	v_addc_co_u32_e32 v18, vcc, v13, v18, vcc
	global_load_ushort v3, v[17:18], off
	s_waitcnt vmcnt(0)
	v_lshlrev_b32_e32 v17, 16, v3
.LBB41_17:                              ;   in Loop: Header=BB41_14 Depth=2
	s_or_b64 exec, exec, s[2:3]
.LBB41_18:                              ;   in Loop: Header=BB41_14 Depth=2
	s_or_b64 exec, exec, s[42:43]
	v_add_u32_e32 v14, 64, v14
	v_cmp_le_i32_e32 vcc, s23, v14
	s_and_saveexec_b64 s[2:3], vcc
	s_cbranch_execz .LBB41_13
; %bb.19:                               ;   in Loop: Header=BB41_14 Depth=2
	s_mov_b64 s[4:5], 0
.LBB41_20:                              ;   Parent Loop BB41_6 Depth=1
                                        ;     Parent Loop BB41_14 Depth=2
                                        ; =>    This Inner Loop Header: Depth=3
	v_subrev_u32_e32 v14, s23, v14
	v_cmp_gt_i32_e32 vcc, s23, v14
	s_or_b64 s[4:5], vcc, s[4:5]
	v_add_u32_e32 v15, 1, v15
	s_andn2_b64 exec, exec, s[4:5]
	s_cbranch_execnz .LBB41_20
; %bb.21:                               ;   in Loop: Header=BB41_14 Depth=2
	s_or_b64 exec, exec, s[4:5]
	s_branch .LBB41_13
.LBB41_22:
	s_or_b64 exec, exec, s[8:9]
.LBB41_23:
	s_or_b64 exec, exec, s[6:7]
	v_bfe_u32 v1, v8, 16, 1
	s_movk_i32 s0, 0x7fff
	v_add3_u32 v1, v8, v1, s0
	v_cmp_o_f32_e32 vcc, v8, v8
	v_mov_b32_e32 v2, 0x7fc0
	s_bcnt1_i32_b32 s0, s44
	v_cndmask_b32_sdwa v2, v2, v1, vcc dst_sel:DWORD dst_unused:UNUSED_PAD src0_sel:DWORD src1_sel:WORD_1
	v_lshl_add_u32 v1, v0, 1, 0
	s_cmp_lg_u32 s0, 1
	s_mov_b64 s[0:1], -1
	ds_write_b16 v1, v2
	s_waitcnt lgkmcnt(0)
	s_barrier
	s_cbranch_scc1 .LBB41_33
; %bb.24:
	s_andn2_b64 vcc, exec, s[0:1]
	s_cbranch_vccnz .LBB41_32
.LBB41_25:
	s_cmp_lt_u32 s44, 2
	s_cbranch_scc1 .LBB41_30
; %bb.26:
	s_movk_i32 s2, 0x7fff
	v_mov_b32_e32 v2, 0x7fc0
	s_branch .LBB41_28
.LBB41_27:                              ;   in Loop: Header=BB41_28 Depth=1
	s_or_b64 exec, exec, s[0:1]
	s_cmp_lt_u32 s44, 4
	s_mov_b32 s44, s3
	s_waitcnt lgkmcnt(0)
	s_barrier
	s_cbranch_scc1 .LBB41_30
.LBB41_28:                              ; =>This Inner Loop Header: Depth=1
	s_lshr_b32 s3, s44, 1
	v_cmp_gt_u32_e32 vcc, s3, v0
	s_and_saveexec_b64 s[0:1], vcc
	s_cbranch_execz .LBB41_27
; %bb.29:                               ;   in Loop: Header=BB41_28 Depth=1
	v_lshl_add_u32 v3, s3, 1, v1
	ds_read_u16 v3, v3
	ds_read_u16 v4, v1
	s_waitcnt lgkmcnt(1)
	v_lshlrev_b32_e32 v3, 16, v3
	s_waitcnt lgkmcnt(0)
	v_lshlrev_b32_e32 v4, 16, v4
	v_add_f32_e32 v3, v3, v4
	v_bfe_u32 v4, v3, 16, 1
	v_cmp_o_f32_e32 vcc, v3, v3
	v_add3_u32 v3, v3, v4, s2
	v_cndmask_b32_sdwa v3, v2, v3, vcc dst_sel:DWORD dst_unused:UNUSED_PAD src0_sel:DWORD src1_sel:WORD_1
	ds_write_b16 v1, v3
	s_branch .LBB41_27
.LBB41_30:
	v_cmp_eq_u32_e32 vcc, 0, v0
	s_and_saveexec_b64 s[0:1], vcc
	s_cbranch_execz .LBB41_32
; %bb.31:
	s_mul_i32 s0, s11, s33
	s_ashr_i32 s1, s0, 31
	s_lshl_b64 s[0:1], s[0:1], 1
	s_add_u32 s2, s34, s0
	s_mul_i32 s0, s12, s20
	s_addc_u32 s3, s35, s1
	s_ashr_i32 s1, s0, 31
	s_lshl_b64 s[0:1], s[0:1], 1
	s_add_u32 s2, s2, s0
	s_mul_i32 s0, s13, s16
	s_addc_u32 s3, s3, s1
	s_ashr_i32 s1, s0, 31
	s_lshl_b64 s[0:1], s[0:1], 1
	v_mov_b32_e32 v0, 0
	s_add_u32 s2, s2, s0
	s_mul_i32 s0, s14, s10
	ds_read_u16 v1, v0
	s_addc_u32 s3, s3, s1
	s_ashr_i32 s1, s0, 31
	s_lshl_b64 s[0:1], s[0:1], 1
	s_add_u32 s0, s2, s0
	s_addc_u32 s1, s3, s1
	s_waitcnt lgkmcnt(0)
	global_store_short v0, v1, s[0:1]
.LBB41_32:
	s_endpgm
.LBB41_33:
	s_trap 2
	; divergent unreachable
	s_cbranch_execz .LBB41_25
	s_branch .LBB41_32
	.section	.rodata,"a",@progbits
	.p2align	6, 0x0
	.amdhsa_kernel _ZN2at6native12_GLOBAL__N_144conv_depthwise3d_cuda_backward_weight_kernelIN3c108BFloat16EfLi1ELi1EEEvN5torch10headeronly6detail27GenericPackedTensorAccessorINS7_14TensorAccessorINS3_8ArrayRefIlEEKT_Lm4ENS6_16DefaultPtrTraitsEiEENS_6detail16IndexBoundsCheckILm5EiEESD_Lm5ESE_iEESJ_NS8_INS9_ISB_SC_Lm4ESE_iEESI_SC_Lm5ESE_iEEiiiiiiiii
		.amdhsa_group_segment_fixed_size 0
		.amdhsa_private_segment_fixed_size 0
		.amdhsa_kernarg_size 440
		.amdhsa_user_sgpr_count 6
		.amdhsa_user_sgpr_private_segment_buffer 1
		.amdhsa_user_sgpr_dispatch_ptr 0
		.amdhsa_user_sgpr_queue_ptr 0
		.amdhsa_user_sgpr_kernarg_segment_ptr 1
		.amdhsa_user_sgpr_dispatch_id 0
		.amdhsa_user_sgpr_flat_scratch_init 0
		.amdhsa_user_sgpr_private_segment_size 0
		.amdhsa_uses_dynamic_stack 0
		.amdhsa_system_sgpr_private_segment_wavefront_offset 0
		.amdhsa_system_sgpr_workgroup_id_x 1
		.amdhsa_system_sgpr_workgroup_id_y 0
		.amdhsa_system_sgpr_workgroup_id_z 0
		.amdhsa_system_sgpr_workgroup_info 0
		.amdhsa_system_vgpr_workitem_id 0
		.amdhsa_next_free_vgpr 19
		.amdhsa_next_free_sgpr 50
		.amdhsa_reserve_vcc 1
		.amdhsa_reserve_flat_scratch 0
		.amdhsa_float_round_mode_32 0
		.amdhsa_float_round_mode_16_64 0
		.amdhsa_float_denorm_mode_32 3
		.amdhsa_float_denorm_mode_16_64 3
		.amdhsa_dx10_clamp 1
		.amdhsa_ieee_mode 1
		.amdhsa_fp16_overflow 0
		.amdhsa_exception_fp_ieee_invalid_op 0
		.amdhsa_exception_fp_denorm_src 0
		.amdhsa_exception_fp_ieee_div_zero 0
		.amdhsa_exception_fp_ieee_overflow 0
		.amdhsa_exception_fp_ieee_underflow 0
		.amdhsa_exception_fp_ieee_inexact 0
		.amdhsa_exception_int_div_zero 0
	.end_amdhsa_kernel
	.section	.text._ZN2at6native12_GLOBAL__N_144conv_depthwise3d_cuda_backward_weight_kernelIN3c108BFloat16EfLi1ELi1EEEvN5torch10headeronly6detail27GenericPackedTensorAccessorINS7_14TensorAccessorINS3_8ArrayRefIlEEKT_Lm4ENS6_16DefaultPtrTraitsEiEENS_6detail16IndexBoundsCheckILm5EiEESD_Lm5ESE_iEESJ_NS8_INS9_ISB_SC_Lm4ESE_iEESI_SC_Lm5ESE_iEEiiiiiiiii,"axG",@progbits,_ZN2at6native12_GLOBAL__N_144conv_depthwise3d_cuda_backward_weight_kernelIN3c108BFloat16EfLi1ELi1EEEvN5torch10headeronly6detail27GenericPackedTensorAccessorINS7_14TensorAccessorINS3_8ArrayRefIlEEKT_Lm4ENS6_16DefaultPtrTraitsEiEENS_6detail16IndexBoundsCheckILm5EiEESD_Lm5ESE_iEESJ_NS8_INS9_ISB_SC_Lm4ESE_iEESI_SC_Lm5ESE_iEEiiiiiiiii,comdat
.Lfunc_end41:
	.size	_ZN2at6native12_GLOBAL__N_144conv_depthwise3d_cuda_backward_weight_kernelIN3c108BFloat16EfLi1ELi1EEEvN5torch10headeronly6detail27GenericPackedTensorAccessorINS7_14TensorAccessorINS3_8ArrayRefIlEEKT_Lm4ENS6_16DefaultPtrTraitsEiEENS_6detail16IndexBoundsCheckILm5EiEESD_Lm5ESE_iEESJ_NS8_INS9_ISB_SC_Lm4ESE_iEESI_SC_Lm5ESE_iEEiiiiiiiii, .Lfunc_end41-_ZN2at6native12_GLOBAL__N_144conv_depthwise3d_cuda_backward_weight_kernelIN3c108BFloat16EfLi1ELi1EEEvN5torch10headeronly6detail27GenericPackedTensorAccessorINS7_14TensorAccessorINS3_8ArrayRefIlEEKT_Lm4ENS6_16DefaultPtrTraitsEiEENS_6detail16IndexBoundsCheckILm5EiEESD_Lm5ESE_iEESJ_NS8_INS9_ISB_SC_Lm4ESE_iEESI_SC_Lm5ESE_iEEiiiiiiiii
                                        ; -- End function
	.set _ZN2at6native12_GLOBAL__N_144conv_depthwise3d_cuda_backward_weight_kernelIN3c108BFloat16EfLi1ELi1EEEvN5torch10headeronly6detail27GenericPackedTensorAccessorINS7_14TensorAccessorINS3_8ArrayRefIlEEKT_Lm4ENS6_16DefaultPtrTraitsEiEENS_6detail16IndexBoundsCheckILm5EiEESD_Lm5ESE_iEESJ_NS8_INS9_ISB_SC_Lm4ESE_iEESI_SC_Lm5ESE_iEEiiiiiiiii.num_vgpr, 19
	.set _ZN2at6native12_GLOBAL__N_144conv_depthwise3d_cuda_backward_weight_kernelIN3c108BFloat16EfLi1ELi1EEEvN5torch10headeronly6detail27GenericPackedTensorAccessorINS7_14TensorAccessorINS3_8ArrayRefIlEEKT_Lm4ENS6_16DefaultPtrTraitsEiEENS_6detail16IndexBoundsCheckILm5EiEESD_Lm5ESE_iEESJ_NS8_INS9_ISB_SC_Lm4ESE_iEESI_SC_Lm5ESE_iEEiiiiiiiii.num_agpr, 0
	.set _ZN2at6native12_GLOBAL__N_144conv_depthwise3d_cuda_backward_weight_kernelIN3c108BFloat16EfLi1ELi1EEEvN5torch10headeronly6detail27GenericPackedTensorAccessorINS7_14TensorAccessorINS3_8ArrayRefIlEEKT_Lm4ENS6_16DefaultPtrTraitsEiEENS_6detail16IndexBoundsCheckILm5EiEESD_Lm5ESE_iEESJ_NS8_INS9_ISB_SC_Lm4ESE_iEESI_SC_Lm5ESE_iEEiiiiiiiii.numbered_sgpr, 50
	.set _ZN2at6native12_GLOBAL__N_144conv_depthwise3d_cuda_backward_weight_kernelIN3c108BFloat16EfLi1ELi1EEEvN5torch10headeronly6detail27GenericPackedTensorAccessorINS7_14TensorAccessorINS3_8ArrayRefIlEEKT_Lm4ENS6_16DefaultPtrTraitsEiEENS_6detail16IndexBoundsCheckILm5EiEESD_Lm5ESE_iEESJ_NS8_INS9_ISB_SC_Lm4ESE_iEESI_SC_Lm5ESE_iEEiiiiiiiii.num_named_barrier, 0
	.set _ZN2at6native12_GLOBAL__N_144conv_depthwise3d_cuda_backward_weight_kernelIN3c108BFloat16EfLi1ELi1EEEvN5torch10headeronly6detail27GenericPackedTensorAccessorINS7_14TensorAccessorINS3_8ArrayRefIlEEKT_Lm4ENS6_16DefaultPtrTraitsEiEENS_6detail16IndexBoundsCheckILm5EiEESD_Lm5ESE_iEESJ_NS8_INS9_ISB_SC_Lm4ESE_iEESI_SC_Lm5ESE_iEEiiiiiiiii.private_seg_size, 0
	.set _ZN2at6native12_GLOBAL__N_144conv_depthwise3d_cuda_backward_weight_kernelIN3c108BFloat16EfLi1ELi1EEEvN5torch10headeronly6detail27GenericPackedTensorAccessorINS7_14TensorAccessorINS3_8ArrayRefIlEEKT_Lm4ENS6_16DefaultPtrTraitsEiEENS_6detail16IndexBoundsCheckILm5EiEESD_Lm5ESE_iEESJ_NS8_INS9_ISB_SC_Lm4ESE_iEESI_SC_Lm5ESE_iEEiiiiiiiii.uses_vcc, 1
	.set _ZN2at6native12_GLOBAL__N_144conv_depthwise3d_cuda_backward_weight_kernelIN3c108BFloat16EfLi1ELi1EEEvN5torch10headeronly6detail27GenericPackedTensorAccessorINS7_14TensorAccessorINS3_8ArrayRefIlEEKT_Lm4ENS6_16DefaultPtrTraitsEiEENS_6detail16IndexBoundsCheckILm5EiEESD_Lm5ESE_iEESJ_NS8_INS9_ISB_SC_Lm4ESE_iEESI_SC_Lm5ESE_iEEiiiiiiiii.uses_flat_scratch, 0
	.set _ZN2at6native12_GLOBAL__N_144conv_depthwise3d_cuda_backward_weight_kernelIN3c108BFloat16EfLi1ELi1EEEvN5torch10headeronly6detail27GenericPackedTensorAccessorINS7_14TensorAccessorINS3_8ArrayRefIlEEKT_Lm4ENS6_16DefaultPtrTraitsEiEENS_6detail16IndexBoundsCheckILm5EiEESD_Lm5ESE_iEESJ_NS8_INS9_ISB_SC_Lm4ESE_iEESI_SC_Lm5ESE_iEEiiiiiiiii.has_dyn_sized_stack, 0
	.set _ZN2at6native12_GLOBAL__N_144conv_depthwise3d_cuda_backward_weight_kernelIN3c108BFloat16EfLi1ELi1EEEvN5torch10headeronly6detail27GenericPackedTensorAccessorINS7_14TensorAccessorINS3_8ArrayRefIlEEKT_Lm4ENS6_16DefaultPtrTraitsEiEENS_6detail16IndexBoundsCheckILm5EiEESD_Lm5ESE_iEESJ_NS8_INS9_ISB_SC_Lm4ESE_iEESI_SC_Lm5ESE_iEEiiiiiiiii.has_recursion, 0
	.set _ZN2at6native12_GLOBAL__N_144conv_depthwise3d_cuda_backward_weight_kernelIN3c108BFloat16EfLi1ELi1EEEvN5torch10headeronly6detail27GenericPackedTensorAccessorINS7_14TensorAccessorINS3_8ArrayRefIlEEKT_Lm4ENS6_16DefaultPtrTraitsEiEENS_6detail16IndexBoundsCheckILm5EiEESD_Lm5ESE_iEESJ_NS8_INS9_ISB_SC_Lm4ESE_iEESI_SC_Lm5ESE_iEEiiiiiiiii.has_indirect_call, 0
	.section	.AMDGPU.csdata,"",@progbits
; Kernel info:
; codeLenInByte = 1896
; TotalNumSgprs: 54
; NumVgprs: 19
; ScratchSize: 0
; MemoryBound: 0
; FloatMode: 240
; IeeeMode: 1
; LDSByteSize: 0 bytes/workgroup (compile time only)
; SGPRBlocks: 6
; VGPRBlocks: 4
; NumSGPRsForWavesPerEU: 54
; NumVGPRsForWavesPerEU: 19
; Occupancy: 10
; WaveLimiterHint : 1
; COMPUTE_PGM_RSRC2:SCRATCH_EN: 0
; COMPUTE_PGM_RSRC2:USER_SGPR: 6
; COMPUTE_PGM_RSRC2:TRAP_HANDLER: 0
; COMPUTE_PGM_RSRC2:TGID_X_EN: 1
; COMPUTE_PGM_RSRC2:TGID_Y_EN: 0
; COMPUTE_PGM_RSRC2:TGID_Z_EN: 0
; COMPUTE_PGM_RSRC2:TIDIG_COMP_CNT: 0
	.section	.text._ZN2at6native12_GLOBAL__N_144conv_depthwise3d_cuda_backward_weight_kernelIN3c108BFloat16EfLi2ELi2EEEvN5torch10headeronly6detail27GenericPackedTensorAccessorINS7_14TensorAccessorINS3_8ArrayRefIlEEKT_Lm4ENS6_16DefaultPtrTraitsEiEENS_6detail16IndexBoundsCheckILm5EiEESD_Lm5ESE_iEESJ_NS8_INS9_ISB_SC_Lm4ESE_iEESI_SC_Lm5ESE_iEEiiiiiiiii,"axG",@progbits,_ZN2at6native12_GLOBAL__N_144conv_depthwise3d_cuda_backward_weight_kernelIN3c108BFloat16EfLi2ELi2EEEvN5torch10headeronly6detail27GenericPackedTensorAccessorINS7_14TensorAccessorINS3_8ArrayRefIlEEKT_Lm4ENS6_16DefaultPtrTraitsEiEENS_6detail16IndexBoundsCheckILm5EiEESD_Lm5ESE_iEESJ_NS8_INS9_ISB_SC_Lm4ESE_iEESI_SC_Lm5ESE_iEEiiiiiiiii,comdat
	.globl	_ZN2at6native12_GLOBAL__N_144conv_depthwise3d_cuda_backward_weight_kernelIN3c108BFloat16EfLi2ELi2EEEvN5torch10headeronly6detail27GenericPackedTensorAccessorINS7_14TensorAccessorINS3_8ArrayRefIlEEKT_Lm4ENS6_16DefaultPtrTraitsEiEENS_6detail16IndexBoundsCheckILm5EiEESD_Lm5ESE_iEESJ_NS8_INS9_ISB_SC_Lm4ESE_iEESI_SC_Lm5ESE_iEEiiiiiiiii ; -- Begin function _ZN2at6native12_GLOBAL__N_144conv_depthwise3d_cuda_backward_weight_kernelIN3c108BFloat16EfLi2ELi2EEEvN5torch10headeronly6detail27GenericPackedTensorAccessorINS7_14TensorAccessorINS3_8ArrayRefIlEEKT_Lm4ENS6_16DefaultPtrTraitsEiEENS_6detail16IndexBoundsCheckILm5EiEESD_Lm5ESE_iEESJ_NS8_INS9_ISB_SC_Lm4ESE_iEESI_SC_Lm5ESE_iEEiiiiiiiii
	.p2align	8
	.type	_ZN2at6native12_GLOBAL__N_144conv_depthwise3d_cuda_backward_weight_kernelIN3c108BFloat16EfLi2ELi2EEEvN5torch10headeronly6detail27GenericPackedTensorAccessorINS7_14TensorAccessorINS3_8ArrayRefIlEEKT_Lm4ENS6_16DefaultPtrTraitsEiEENS_6detail16IndexBoundsCheckILm5EiEESD_Lm5ESE_iEESJ_NS8_INS9_ISB_SC_Lm4ESE_iEESI_SC_Lm5ESE_iEEiiiiiiiii,@function
_ZN2at6native12_GLOBAL__N_144conv_depthwise3d_cuda_backward_weight_kernelIN3c108BFloat16EfLi2ELi2EEEvN5torch10headeronly6detail27GenericPackedTensorAccessorINS7_14TensorAccessorINS3_8ArrayRefIlEEKT_Lm4ENS6_16DefaultPtrTraitsEiEENS_6detail16IndexBoundsCheckILm5EiEESD_Lm5ESE_iEESJ_NS8_INS9_ISB_SC_Lm4ESE_iEESI_SC_Lm5ESE_iEEiiiiiiiii: ; @_ZN2at6native12_GLOBAL__N_144conv_depthwise3d_cuda_backward_weight_kernelIN3c108BFloat16EfLi2ELi2EEEvN5torch10headeronly6detail27GenericPackedTensorAccessorINS7_14TensorAccessorINS3_8ArrayRefIlEEKT_Lm4ENS6_16DefaultPtrTraitsEiEENS_6detail16IndexBoundsCheckILm5EiEESD_Lm5ESE_iEESJ_NS8_INS9_ISB_SC_Lm4ESE_iEESI_SC_Lm5ESE_iEEiiiiiiiii
; %bb.0:
	s_load_dwordx4 s[8:11], s[4:5], 0x70
	s_add_u32 s0, s4, 0x60
	s_addc_u32 s1, s5, 0
	s_load_dwordx4 s[16:19], s[4:5], 0x3c
	s_load_dwordx4 s[20:23], s[4:5], 0xc
	s_waitcnt lgkmcnt(0)
	v_cvt_f32_u32_e32 v1, s10
	v_cvt_f32_u32_e32 v2, s9
	s_sub_i32 s2, 0, s10
	v_rcp_iflag_f32_e32 v1, v1
	v_rcp_iflag_f32_e32 v2, v2
	v_mul_f32_e32 v1, 0x4f7ffffe, v1
	v_cvt_u32_f32_e32 v1, v1
	v_mul_f32_e32 v2, 0x4f7ffffe, v2
	v_cvt_u32_f32_e32 v2, v2
	v_readfirstlane_b32 s3, v1
	s_mul_i32 s2, s2, s3
	s_mul_hi_u32 s2, s3, s2
	s_add_i32 s3, s3, s2
	s_mul_hi_u32 s2, s6, s3
	s_mul_i32 s3, s2, s10
	s_sub_i32 s3, s6, s3
	s_add_i32 s12, s2, 1
	s_sub_i32 s13, s3, s10
	s_cmp_ge_u32 s3, s10
	s_cselect_b32 s2, s12, s2
	s_cselect_b32 s3, s13, s3
	s_add_i32 s12, s2, 1
	s_cmp_ge_u32 s3, s10
	v_cvt_f32_u32_e32 v1, s8
	v_readfirstlane_b32 s7, v2
	s_cselect_b32 s2, s12, s2
	s_sub_i32 s3, 0, s9
	s_mul_i32 s3, s3, s7
	s_mul_hi_u32 s3, s7, s3
	s_add_i32 s7, s7, s3
	v_rcp_iflag_f32_e32 v1, v1
	s_mul_hi_u32 s3, s2, s7
	s_mul_i32 s7, s3, s9
	s_sub_i32 s7, s2, s7
	s_add_i32 s12, s3, 1
	s_sub_i32 s13, s7, s9
	v_mul_f32_e32 v1, 0x4f7ffffe, v1
	s_cmp_ge_u32 s7, s9
	v_cvt_u32_f32_e32 v1, v1
	s_cselect_b32 s3, s12, s3
	s_cselect_b32 s7, s13, s7
	s_add_i32 s12, s3, 1
	s_cmp_ge_u32 s7, s9
	s_cselect_b32 s3, s12, s3
	s_sub_i32 s7, 0, s8
	v_readfirstlane_b32 s12, v1
	s_mul_i32 s7, s7, s12
	s_mul_hi_u32 s7, s12, s7
	s_add_i32 s12, s12, s7
	s_mul_hi_u32 s7, s3, s12
	s_mul_i32 s12, s7, s8
	s_sub_i32 s12, s3, s12
	s_add_i32 s13, s7, 1
	s_sub_i32 s14, s12, s8
	s_cmp_ge_u32 s12, s8
	s_cselect_b32 s7, s13, s7
	s_cselect_b32 s12, s14, s12
	s_add_i32 s13, s7, 1
	s_cmp_ge_u32 s12, s8
	s_cselect_b32 s33, s13, s7
	s_abs_i32 s7, s16
	v_cvt_f32_u32_e32 v1, s7
	s_sub_i32 s14, 0, s7
	s_abs_i32 s13, s20
	s_xor_b32 s12, s20, s16
	v_rcp_iflag_f32_e32 v1, v1
	s_ashr_i32 s12, s12, 31
	v_mul_f32_e32 v1, 0x4f7ffffe, v1
	v_cvt_u32_f32_e32 v1, v1
	v_readfirstlane_b32 s15, v1
	s_mul_i32 s14, s14, s15
	s_mul_hi_u32 s14, s15, s14
	s_add_i32 s15, s15, s14
	s_mul_hi_u32 s14, s13, s15
	s_mul_i32 s15, s14, s7
	s_sub_i32 s13, s13, s15
	s_add_i32 s15, s14, 1
	s_sub_i32 s16, s13, s7
	s_cmp_ge_u32 s13, s7
	s_cselect_b32 s14, s15, s14
	s_cselect_b32 s13, s16, s13
	s_add_i32 s15, s14, 1
	s_cmp_ge_u32 s13, s7
	s_cselect_b32 s7, s15, s14
	s_xor_b32 s7, s7, s12
	s_sub_i32 s25, s7, s12
	s_abs_i32 s24, s25
	v_cvt_f32_u32_e32 v1, s24
	s_load_dword s7, s[4:5], 0x68
	v_rcp_iflag_f32_e32 v1, v1
	s_waitcnt lgkmcnt(0)
	s_cmp_ge_i32 s33, s7
	v_mul_f32_e32 v1, 0x4f7ffffe, v1
	v_cvt_u32_f32_e32 v1, v1
	v_readfirstlane_b32 s26, v1
	s_cbranch_scc1 .LBB42_32
; %bb.1:
	s_load_dwordx2 s[34:35], s[0:1], 0x0
	s_load_dwordx4 s[12:15], s[0:1], 0x24
	s_mul_i32 s0, s2, s10
	s_sub_i32 s10, s6, s0
	s_mul_i32 s0, s3, s9
	s_sub_i32 s16, s2, s0
	s_load_dword s0, s[4:5], 0xc4
	s_load_dword s45, s[4:5], 0x38
	s_mul_i32 s1, s33, s8
	v_lshrrev_b32_e32 v4, 6, v0
	s_sub_i32 s20, s3, s1
	s_waitcnt lgkmcnt(0)
	s_and_b32 s44, s0, 0xffff
	s_mul_i32 s45, s45, s21
	v_cmp_gt_i32_e32 vcc, s45, v4
	v_mov_b32_e32 v8, 0
	s_and_saveexec_b64 s[6:7], vcc
	s_cbranch_execz .LBB42_23
; %bb.2:
	s_sub_i32 s3, 0, s24
	s_mul_i32 s3, s3, s26
	s_mul_hi_u32 s3, s26, s3
	s_abs_i32 s2, s33
	s_add_i32 s26, s26, s3
	s_ashr_i32 s0, s33, 31
	s_ashr_i32 s1, s25, 31
	s_mul_hi_u32 s3, s2, s26
	s_xor_b32 s28, s0, s1
	s_mul_i32 s0, s3, s24
	s_sub_i32 s0, s2, s0
	s_lshr_b32 s46, s44, 6
	s_add_i32 s1, s3, 1
	s_sub_i32 s2, s0, s24
	s_cmp_ge_u32 s0, s24
	s_cselect_b32 s1, s1, s3
	s_cselect_b32 s0, s2, s0
	s_add_i32 s2, s1, 1
	s_cmp_ge_u32 s0, s24
	s_cselect_b32 s29, s2, s1
	s_abs_i32 s42, s21
	v_cvt_f32_u32_e32 v1, s42
	s_sub_i32 s0, 0, s42
	s_ashr_i32 s43, s21, 31
	v_and_b32_e32 v8, 63, v0
	v_rcp_iflag_f32_e32 v1, v1
	v_mov_b32_e32 v7, 0
	v_lshlrev_b32_e32 v11, 1, v8
	v_mul_f32_e32 v1, 0x4f7ffffe, v1
	v_cvt_u32_f32_e32 v1, v1
	v_mul_lo_u32 v2, s0, v1
	s_load_dwordx4 s[0:3], s[4:5], 0x9c
	s_load_dwordx2 s[8:9], s[4:5], 0xac
	s_load_dwordx2 s[36:37], s[4:5], 0x0
	s_load_dwordx4 s[24:27], s[4:5], 0x1c
	v_mul_hi_u32 v2, v1, v2
	s_waitcnt lgkmcnt(0)
	s_mul_i32 s3, s20, s3
	s_sub_i32 s27, s3, s0
	s_xor_b32 s0, s29, s28
	s_sub_i32 s0, s0, s28
	s_load_dwordx2 s[40:41], s[4:5], 0x30
	s_load_dwordx4 s[28:31], s[4:5], 0x4c
	s_mul_i32 s38, s25, s33
	s_ashr_i32 s39, s38, 31
	s_lshl_b64 s[4:5], s[38:39], 1
	s_add_u32 s25, s36, s4
	s_waitcnt lgkmcnt(0)
	s_mul_i32 s4, s29, s0
	s_addc_u32 s31, s37, s5
	s_ashr_i32 s5, s4, 31
	s_lshl_b64 s[4:5], s[4:5], 1
	s_add_u32 s29, s40, s4
	s_addc_u32 s47, s41, s5
	s_abs_i32 s0, s23
	v_cvt_f32_u32_e32 v3, s0
	v_add_u32_e32 v1, v1, v2
	v_mul_hi_u32 v1, v4, v1
	s_sub_i32 s3, 0, s0
	v_rcp_iflag_f32_e32 v3, v3
	v_mul_lo_u32 v2, v1, s42
	v_add_u32_e32 v5, 1, v1
	v_mul_f32_e32 v3, 0x4f7ffffe, v3
	v_cvt_u32_f32_e32 v3, v3
	v_sub_u32_e32 v2, v4, v2
	v_cmp_le_u32_e32 vcc, s42, v2
	v_cndmask_b32_e32 v1, v1, v5, vcc
	v_subrev_u32_e32 v5, s42, v2
	v_cndmask_b32_e32 v2, v2, v5, vcc
	v_mul_lo_u32 v5, s3, v3
	v_cmp_le_u32_e32 vcc, s42, v2
	v_add_u32_e32 v6, 1, v1
	v_cndmask_b32_e32 v1, v1, v6, vcc
	v_mul_hi_u32 v2, v3, v5
	v_xor_b32_e32 v1, s43, v1
	v_subrev_u32_e32 v5, s43, v1
	v_mul_lo_u32 v1, v5, s21
	v_add_u32_e32 v2, v3, v2
	v_mul_hi_u32 v2, v8, v2
	s_mul_i32 s3, s10, s9
	v_sub_u32_e32 v6, v4, v1
	s_sub_i32 s48, s3, s2
	v_mul_lo_u32 v1, v2, s0
	v_add_u32_e32 v3, 1, v2
	s_ashr_i32 s2, s23, 31
	v_sub_u32_e32 v1, v8, v1
	v_cmp_le_u32_e32 vcc, s0, v1
	v_cndmask_b32_e32 v2, v2, v3, vcc
	v_subrev_u32_e32 v3, s0, v1
	v_cndmask_b32_e32 v1, v1, v3, vcc
	v_add_u32_e32 v3, 1, v2
	v_cmp_le_u32_e32 vcc, s0, v1
	v_cndmask_b32_e32 v1, v2, v3, vcc
	v_xor_b32_e32 v1, s2, v1
	v_subrev_u32_e32 v9, s2, v1
	v_mul_lo_u32 v1, v9, s23
	s_mul_i32 s0, s16, s8
	s_sub_i32 s49, s0, s1
	v_cmp_gt_i32_e64 s[0:1], s22, v9
	v_sub_u32_e32 v10, v8, v1
	s_mov_b64 s[8:9], 0
	v_mov_b32_e32 v8, 0
	s_branch .LBB42_6
.LBB42_3:                               ;   in Loop: Header=BB42_6 Depth=1
	s_or_b64 exec, exec, s[40:41]
.LBB42_4:                               ;   in Loop: Header=BB42_6 Depth=1
	s_or_b64 exec, exec, s[38:39]
.LBB42_5:                               ;   in Loop: Header=BB42_6 Depth=1
	s_or_b64 exec, exec, s[36:37]
	v_add_u32_e32 v4, s46, v4
	v_cmp_le_i32_e32 vcc, s45, v4
	s_or_b64 s[8:9], vcc, s[8:9]
	v_add_u32_e32 v6, s46, v6
	s_andn2_b64 exec, exec, s[8:9]
	s_cbranch_execz .LBB42_22
.LBB42_6:                               ; =>This Loop Header: Depth=1
                                        ;     Child Loop BB42_8 Depth 2
                                        ;     Child Loop BB42_14 Depth 2
                                        ;       Child Loop BB42_20 Depth 3
	v_cmp_le_i32_e32 vcc, s21, v6
	s_and_saveexec_b64 s[2:3], vcc
	s_cbranch_execz .LBB42_10
; %bb.7:                                ;   in Loop: Header=BB42_6 Depth=1
	s_mov_b64 s[4:5], 0
.LBB42_8:                               ;   Parent Loop BB42_6 Depth=1
                                        ; =>  This Inner Loop Header: Depth=2
	v_subrev_u32_e32 v6, s21, v6
	v_cmp_gt_i32_e32 vcc, s21, v6
	s_or_b64 s[4:5], vcc, s[4:5]
	v_add_u32_e32 v5, 1, v5
	s_andn2_b64 exec, exec, s[4:5]
	s_cbranch_execnz .LBB42_8
; %bb.9:                                ;   in Loop: Header=BB42_6 Depth=1
	s_or_b64 exec, exec, s[4:5]
.LBB42_10:                              ;   in Loop: Header=BB42_6 Depth=1
	s_or_b64 exec, exec, s[2:3]
	v_mul_lo_u32 v1, v6, s15
	v_add_u32_e32 v1, s27, v1
	v_cmp_lt_i32_e32 vcc, -1, v1
	v_cmp_gt_i32_e64 s[2:3], s17, v1
	s_and_b64 s[2:3], vcc, s[2:3]
	s_and_saveexec_b64 s[36:37], s[2:3]
	s_cbranch_execz .LBB42_5
; %bb.11:                               ;   in Loop: Header=BB42_6 Depth=1
	s_and_saveexec_b64 s[38:39], s[0:1]
	s_cbranch_execz .LBB42_4
; %bb.12:                               ;   in Loop: Header=BB42_6 Depth=1
	v_mul_lo_u32 v2, s28, v5
	v_mul_lo_u32 v1, s30, v1
	;; [unrolled: 1-line block ×3, first 2 shown]
	v_mov_b32_e32 v12, s47
	v_ashrrev_i32_e32 v3, 31, v2
	v_lshlrev_b64 v[2:3], 1, v[2:3]
	v_ashrrev_i32_e32 v15, 31, v14
	v_add_co_u32_e32 v13, vcc, s29, v2
	v_ashrrev_i32_e32 v2, 31, v1
	v_lshlrev_b64 v[1:2], 1, v[1:2]
	v_addc_co_u32_e32 v3, vcc, v12, v3, vcc
	v_add_co_u32_e32 v12, vcc, v13, v1
	v_addc_co_u32_e32 v13, vcc, v3, v2, vcc
	v_lshlrev_b64 v[1:2], 1, v[14:15]
	v_mul_lo_u32 v14, s26, v6
	v_mov_b32_e32 v3, s31
	v_add_co_u32_e32 v16, vcc, s25, v1
	v_ashrrev_i32_e32 v15, 31, v14
	v_addc_co_u32_e32 v3, vcc, v3, v2, vcc
	v_lshlrev_b64 v[1:2], 1, v[14:15]
	s_mov_b64 s[40:41], 0
	v_add_co_u32_e32 v1, vcc, v16, v1
	v_addc_co_u32_e32 v2, vcc, v3, v2, vcc
	v_add_co_u32_e32 v1, vcc, v1, v11
	v_addc_co_u32_e32 v2, vcc, 0, v2, vcc
	v_mov_b32_e32 v14, v10
	v_mov_b32_e32 v15, v9
	s_branch .LBB42_14
.LBB42_13:                              ;   in Loop: Header=BB42_14 Depth=2
	s_or_b64 exec, exec, s[2:3]
	v_add_co_u32_e32 v1, vcc, 0x80, v1
	v_addc_co_u32_e32 v2, vcc, 0, v2, vcc
	s_waitcnt vmcnt(0)
	v_lshlrev_b32_e32 v3, 16, v16
	v_cmp_le_i32_e32 vcc, s22, v15
	s_or_b64 s[40:41], vcc, s[40:41]
	v_fmac_f32_e32 v8, v17, v3
	s_andn2_b64 exec, exec, s[40:41]
	s_cbranch_execz .LBB42_3
.LBB42_14:                              ;   Parent Loop BB42_6 Depth=1
                                        ; =>  This Loop Header: Depth=2
                                        ;       Child Loop BB42_20 Depth 3
	global_load_ushort v16, v[1:2], off
	v_lshl_add_u32 v3, v14, 1, s48
	v_cmp_lt_i32_e32 vcc, -1, v3
	v_mov_b32_e32 v17, 0
	s_and_saveexec_b64 s[42:43], vcc
	s_cbranch_execz .LBB42_18
; %bb.15:                               ;   in Loop: Header=BB42_14 Depth=2
	v_lshl_add_u32 v18, v15, 1, s49
	v_cmp_gt_i32_e32 vcc, s19, v3
	v_cmp_gt_i32_e64 s[4:5], s18, v18
	v_cmp_lt_i32_e64 s[2:3], -1, v18
	s_and_b64 s[4:5], vcc, s[4:5]
	s_and_b64 s[4:5], s[4:5], s[2:3]
	v_mov_b32_e32 v17, 0
	s_and_saveexec_b64 s[2:3], s[4:5]
	s_cbranch_execz .LBB42_17
; %bb.16:                               ;   in Loop: Header=BB42_14 Depth=2
	v_mad_u64_u32 v[17:18], s[4:5], v18, s19, v[3:4]
	v_mov_b32_e32 v18, v7
	v_lshlrev_b64 v[17:18], 1, v[17:18]
	v_add_co_u32_e32 v17, vcc, v12, v17
	v_addc_co_u32_e32 v18, vcc, v13, v18, vcc
	global_load_ushort v3, v[17:18], off
	s_waitcnt vmcnt(0)
	v_lshlrev_b32_e32 v17, 16, v3
.LBB42_17:                              ;   in Loop: Header=BB42_14 Depth=2
	s_or_b64 exec, exec, s[2:3]
.LBB42_18:                              ;   in Loop: Header=BB42_14 Depth=2
	s_or_b64 exec, exec, s[42:43]
	v_add_u32_e32 v14, 64, v14
	v_cmp_le_i32_e32 vcc, s23, v14
	s_and_saveexec_b64 s[2:3], vcc
	s_cbranch_execz .LBB42_13
; %bb.19:                               ;   in Loop: Header=BB42_14 Depth=2
	s_mov_b64 s[4:5], 0
.LBB42_20:                              ;   Parent Loop BB42_6 Depth=1
                                        ;     Parent Loop BB42_14 Depth=2
                                        ; =>    This Inner Loop Header: Depth=3
	v_subrev_u32_e32 v14, s23, v14
	v_cmp_gt_i32_e32 vcc, s23, v14
	s_or_b64 s[4:5], vcc, s[4:5]
	v_add_u32_e32 v15, 1, v15
	s_andn2_b64 exec, exec, s[4:5]
	s_cbranch_execnz .LBB42_20
; %bb.21:                               ;   in Loop: Header=BB42_14 Depth=2
	s_or_b64 exec, exec, s[4:5]
	s_branch .LBB42_13
.LBB42_22:
	s_or_b64 exec, exec, s[8:9]
.LBB42_23:
	s_or_b64 exec, exec, s[6:7]
	v_bfe_u32 v1, v8, 16, 1
	s_movk_i32 s0, 0x7fff
	v_add3_u32 v1, v8, v1, s0
	v_cmp_o_f32_e32 vcc, v8, v8
	v_mov_b32_e32 v2, 0x7fc0
	s_bcnt1_i32_b32 s0, s44
	v_cndmask_b32_sdwa v2, v2, v1, vcc dst_sel:DWORD dst_unused:UNUSED_PAD src0_sel:DWORD src1_sel:WORD_1
	v_lshl_add_u32 v1, v0, 1, 0
	s_cmp_lg_u32 s0, 1
	s_mov_b64 s[0:1], -1
	ds_write_b16 v1, v2
	s_waitcnt lgkmcnt(0)
	s_barrier
	s_cbranch_scc1 .LBB42_33
; %bb.24:
	s_andn2_b64 vcc, exec, s[0:1]
	s_cbranch_vccnz .LBB42_32
.LBB42_25:
	s_cmp_lt_u32 s44, 2
	s_cbranch_scc1 .LBB42_30
; %bb.26:
	s_movk_i32 s2, 0x7fff
	v_mov_b32_e32 v2, 0x7fc0
	s_branch .LBB42_28
.LBB42_27:                              ;   in Loop: Header=BB42_28 Depth=1
	s_or_b64 exec, exec, s[0:1]
	s_cmp_lt_u32 s44, 4
	s_mov_b32 s44, s3
	s_waitcnt lgkmcnt(0)
	s_barrier
	s_cbranch_scc1 .LBB42_30
.LBB42_28:                              ; =>This Inner Loop Header: Depth=1
	s_lshr_b32 s3, s44, 1
	v_cmp_gt_u32_e32 vcc, s3, v0
	s_and_saveexec_b64 s[0:1], vcc
	s_cbranch_execz .LBB42_27
; %bb.29:                               ;   in Loop: Header=BB42_28 Depth=1
	v_lshl_add_u32 v3, s3, 1, v1
	ds_read_u16 v3, v3
	ds_read_u16 v4, v1
	s_waitcnt lgkmcnt(1)
	v_lshlrev_b32_e32 v3, 16, v3
	s_waitcnt lgkmcnt(0)
	v_lshlrev_b32_e32 v4, 16, v4
	v_add_f32_e32 v3, v3, v4
	v_bfe_u32 v4, v3, 16, 1
	v_cmp_o_f32_e32 vcc, v3, v3
	v_add3_u32 v3, v3, v4, s2
	v_cndmask_b32_sdwa v3, v2, v3, vcc dst_sel:DWORD dst_unused:UNUSED_PAD src0_sel:DWORD src1_sel:WORD_1
	ds_write_b16 v1, v3
	s_branch .LBB42_27
.LBB42_30:
	v_cmp_eq_u32_e32 vcc, 0, v0
	s_and_saveexec_b64 s[0:1], vcc
	s_cbranch_execz .LBB42_32
; %bb.31:
	s_mul_i32 s0, s11, s33
	s_ashr_i32 s1, s0, 31
	s_lshl_b64 s[0:1], s[0:1], 1
	s_add_u32 s2, s34, s0
	s_mul_i32 s0, s12, s20
	s_addc_u32 s3, s35, s1
	s_ashr_i32 s1, s0, 31
	s_lshl_b64 s[0:1], s[0:1], 1
	s_add_u32 s2, s2, s0
	s_mul_i32 s0, s13, s16
	s_addc_u32 s3, s3, s1
	s_ashr_i32 s1, s0, 31
	s_lshl_b64 s[0:1], s[0:1], 1
	v_mov_b32_e32 v0, 0
	s_add_u32 s2, s2, s0
	s_mul_i32 s0, s14, s10
	ds_read_u16 v1, v0
	s_addc_u32 s3, s3, s1
	s_ashr_i32 s1, s0, 31
	s_lshl_b64 s[0:1], s[0:1], 1
	s_add_u32 s0, s2, s0
	s_addc_u32 s1, s3, s1
	s_waitcnt lgkmcnt(0)
	global_store_short v0, v1, s[0:1]
.LBB42_32:
	s_endpgm
.LBB42_33:
	s_trap 2
	; divergent unreachable
	s_cbranch_execz .LBB42_25
	s_branch .LBB42_32
	.section	.rodata,"a",@progbits
	.p2align	6, 0x0
	.amdhsa_kernel _ZN2at6native12_GLOBAL__N_144conv_depthwise3d_cuda_backward_weight_kernelIN3c108BFloat16EfLi2ELi2EEEvN5torch10headeronly6detail27GenericPackedTensorAccessorINS7_14TensorAccessorINS3_8ArrayRefIlEEKT_Lm4ENS6_16DefaultPtrTraitsEiEENS_6detail16IndexBoundsCheckILm5EiEESD_Lm5ESE_iEESJ_NS8_INS9_ISB_SC_Lm4ESE_iEESI_SC_Lm5ESE_iEEiiiiiiiii
		.amdhsa_group_segment_fixed_size 0
		.amdhsa_private_segment_fixed_size 0
		.amdhsa_kernarg_size 440
		.amdhsa_user_sgpr_count 6
		.amdhsa_user_sgpr_private_segment_buffer 1
		.amdhsa_user_sgpr_dispatch_ptr 0
		.amdhsa_user_sgpr_queue_ptr 0
		.amdhsa_user_sgpr_kernarg_segment_ptr 1
		.amdhsa_user_sgpr_dispatch_id 0
		.amdhsa_user_sgpr_flat_scratch_init 0
		.amdhsa_user_sgpr_private_segment_size 0
		.amdhsa_uses_dynamic_stack 0
		.amdhsa_system_sgpr_private_segment_wavefront_offset 0
		.amdhsa_system_sgpr_workgroup_id_x 1
		.amdhsa_system_sgpr_workgroup_id_y 0
		.amdhsa_system_sgpr_workgroup_id_z 0
		.amdhsa_system_sgpr_workgroup_info 0
		.amdhsa_system_vgpr_workitem_id 0
		.amdhsa_next_free_vgpr 19
		.amdhsa_next_free_sgpr 50
		.amdhsa_reserve_vcc 1
		.amdhsa_reserve_flat_scratch 0
		.amdhsa_float_round_mode_32 0
		.amdhsa_float_round_mode_16_64 0
		.amdhsa_float_denorm_mode_32 3
		.amdhsa_float_denorm_mode_16_64 3
		.amdhsa_dx10_clamp 1
		.amdhsa_ieee_mode 1
		.amdhsa_fp16_overflow 0
		.amdhsa_exception_fp_ieee_invalid_op 0
		.amdhsa_exception_fp_denorm_src 0
		.amdhsa_exception_fp_ieee_div_zero 0
		.amdhsa_exception_fp_ieee_overflow 0
		.amdhsa_exception_fp_ieee_underflow 0
		.amdhsa_exception_fp_ieee_inexact 0
		.amdhsa_exception_int_div_zero 0
	.end_amdhsa_kernel
	.section	.text._ZN2at6native12_GLOBAL__N_144conv_depthwise3d_cuda_backward_weight_kernelIN3c108BFloat16EfLi2ELi2EEEvN5torch10headeronly6detail27GenericPackedTensorAccessorINS7_14TensorAccessorINS3_8ArrayRefIlEEKT_Lm4ENS6_16DefaultPtrTraitsEiEENS_6detail16IndexBoundsCheckILm5EiEESD_Lm5ESE_iEESJ_NS8_INS9_ISB_SC_Lm4ESE_iEESI_SC_Lm5ESE_iEEiiiiiiiii,"axG",@progbits,_ZN2at6native12_GLOBAL__N_144conv_depthwise3d_cuda_backward_weight_kernelIN3c108BFloat16EfLi2ELi2EEEvN5torch10headeronly6detail27GenericPackedTensorAccessorINS7_14TensorAccessorINS3_8ArrayRefIlEEKT_Lm4ENS6_16DefaultPtrTraitsEiEENS_6detail16IndexBoundsCheckILm5EiEESD_Lm5ESE_iEESJ_NS8_INS9_ISB_SC_Lm4ESE_iEESI_SC_Lm5ESE_iEEiiiiiiiii,comdat
.Lfunc_end42:
	.size	_ZN2at6native12_GLOBAL__N_144conv_depthwise3d_cuda_backward_weight_kernelIN3c108BFloat16EfLi2ELi2EEEvN5torch10headeronly6detail27GenericPackedTensorAccessorINS7_14TensorAccessorINS3_8ArrayRefIlEEKT_Lm4ENS6_16DefaultPtrTraitsEiEENS_6detail16IndexBoundsCheckILm5EiEESD_Lm5ESE_iEESJ_NS8_INS9_ISB_SC_Lm4ESE_iEESI_SC_Lm5ESE_iEEiiiiiiiii, .Lfunc_end42-_ZN2at6native12_GLOBAL__N_144conv_depthwise3d_cuda_backward_weight_kernelIN3c108BFloat16EfLi2ELi2EEEvN5torch10headeronly6detail27GenericPackedTensorAccessorINS7_14TensorAccessorINS3_8ArrayRefIlEEKT_Lm4ENS6_16DefaultPtrTraitsEiEENS_6detail16IndexBoundsCheckILm5EiEESD_Lm5ESE_iEESJ_NS8_INS9_ISB_SC_Lm4ESE_iEESI_SC_Lm5ESE_iEEiiiiiiiii
                                        ; -- End function
	.set _ZN2at6native12_GLOBAL__N_144conv_depthwise3d_cuda_backward_weight_kernelIN3c108BFloat16EfLi2ELi2EEEvN5torch10headeronly6detail27GenericPackedTensorAccessorINS7_14TensorAccessorINS3_8ArrayRefIlEEKT_Lm4ENS6_16DefaultPtrTraitsEiEENS_6detail16IndexBoundsCheckILm5EiEESD_Lm5ESE_iEESJ_NS8_INS9_ISB_SC_Lm4ESE_iEESI_SC_Lm5ESE_iEEiiiiiiiii.num_vgpr, 19
	.set _ZN2at6native12_GLOBAL__N_144conv_depthwise3d_cuda_backward_weight_kernelIN3c108BFloat16EfLi2ELi2EEEvN5torch10headeronly6detail27GenericPackedTensorAccessorINS7_14TensorAccessorINS3_8ArrayRefIlEEKT_Lm4ENS6_16DefaultPtrTraitsEiEENS_6detail16IndexBoundsCheckILm5EiEESD_Lm5ESE_iEESJ_NS8_INS9_ISB_SC_Lm4ESE_iEESI_SC_Lm5ESE_iEEiiiiiiiii.num_agpr, 0
	.set _ZN2at6native12_GLOBAL__N_144conv_depthwise3d_cuda_backward_weight_kernelIN3c108BFloat16EfLi2ELi2EEEvN5torch10headeronly6detail27GenericPackedTensorAccessorINS7_14TensorAccessorINS3_8ArrayRefIlEEKT_Lm4ENS6_16DefaultPtrTraitsEiEENS_6detail16IndexBoundsCheckILm5EiEESD_Lm5ESE_iEESJ_NS8_INS9_ISB_SC_Lm4ESE_iEESI_SC_Lm5ESE_iEEiiiiiiiii.numbered_sgpr, 50
	.set _ZN2at6native12_GLOBAL__N_144conv_depthwise3d_cuda_backward_weight_kernelIN3c108BFloat16EfLi2ELi2EEEvN5torch10headeronly6detail27GenericPackedTensorAccessorINS7_14TensorAccessorINS3_8ArrayRefIlEEKT_Lm4ENS6_16DefaultPtrTraitsEiEENS_6detail16IndexBoundsCheckILm5EiEESD_Lm5ESE_iEESJ_NS8_INS9_ISB_SC_Lm4ESE_iEESI_SC_Lm5ESE_iEEiiiiiiiii.num_named_barrier, 0
	.set _ZN2at6native12_GLOBAL__N_144conv_depthwise3d_cuda_backward_weight_kernelIN3c108BFloat16EfLi2ELi2EEEvN5torch10headeronly6detail27GenericPackedTensorAccessorINS7_14TensorAccessorINS3_8ArrayRefIlEEKT_Lm4ENS6_16DefaultPtrTraitsEiEENS_6detail16IndexBoundsCheckILm5EiEESD_Lm5ESE_iEESJ_NS8_INS9_ISB_SC_Lm4ESE_iEESI_SC_Lm5ESE_iEEiiiiiiiii.private_seg_size, 0
	.set _ZN2at6native12_GLOBAL__N_144conv_depthwise3d_cuda_backward_weight_kernelIN3c108BFloat16EfLi2ELi2EEEvN5torch10headeronly6detail27GenericPackedTensorAccessorINS7_14TensorAccessorINS3_8ArrayRefIlEEKT_Lm4ENS6_16DefaultPtrTraitsEiEENS_6detail16IndexBoundsCheckILm5EiEESD_Lm5ESE_iEESJ_NS8_INS9_ISB_SC_Lm4ESE_iEESI_SC_Lm5ESE_iEEiiiiiiiii.uses_vcc, 1
	.set _ZN2at6native12_GLOBAL__N_144conv_depthwise3d_cuda_backward_weight_kernelIN3c108BFloat16EfLi2ELi2EEEvN5torch10headeronly6detail27GenericPackedTensorAccessorINS7_14TensorAccessorINS3_8ArrayRefIlEEKT_Lm4ENS6_16DefaultPtrTraitsEiEENS_6detail16IndexBoundsCheckILm5EiEESD_Lm5ESE_iEESJ_NS8_INS9_ISB_SC_Lm4ESE_iEESI_SC_Lm5ESE_iEEiiiiiiiii.uses_flat_scratch, 0
	.set _ZN2at6native12_GLOBAL__N_144conv_depthwise3d_cuda_backward_weight_kernelIN3c108BFloat16EfLi2ELi2EEEvN5torch10headeronly6detail27GenericPackedTensorAccessorINS7_14TensorAccessorINS3_8ArrayRefIlEEKT_Lm4ENS6_16DefaultPtrTraitsEiEENS_6detail16IndexBoundsCheckILm5EiEESD_Lm5ESE_iEESJ_NS8_INS9_ISB_SC_Lm4ESE_iEESI_SC_Lm5ESE_iEEiiiiiiiii.has_dyn_sized_stack, 0
	.set _ZN2at6native12_GLOBAL__N_144conv_depthwise3d_cuda_backward_weight_kernelIN3c108BFloat16EfLi2ELi2EEEvN5torch10headeronly6detail27GenericPackedTensorAccessorINS7_14TensorAccessorINS3_8ArrayRefIlEEKT_Lm4ENS6_16DefaultPtrTraitsEiEENS_6detail16IndexBoundsCheckILm5EiEESD_Lm5ESE_iEESJ_NS8_INS9_ISB_SC_Lm4ESE_iEESI_SC_Lm5ESE_iEEiiiiiiiii.has_recursion, 0
	.set _ZN2at6native12_GLOBAL__N_144conv_depthwise3d_cuda_backward_weight_kernelIN3c108BFloat16EfLi2ELi2EEEvN5torch10headeronly6detail27GenericPackedTensorAccessorINS7_14TensorAccessorINS3_8ArrayRefIlEEKT_Lm4ENS6_16DefaultPtrTraitsEiEENS_6detail16IndexBoundsCheckILm5EiEESD_Lm5ESE_iEESJ_NS8_INS9_ISB_SC_Lm4ESE_iEESI_SC_Lm5ESE_iEEiiiiiiiii.has_indirect_call, 0
	.section	.AMDGPU.csdata,"",@progbits
; Kernel info:
; codeLenInByte = 1904
; TotalNumSgprs: 54
; NumVgprs: 19
; ScratchSize: 0
; MemoryBound: 0
; FloatMode: 240
; IeeeMode: 1
; LDSByteSize: 0 bytes/workgroup (compile time only)
; SGPRBlocks: 6
; VGPRBlocks: 4
; NumSGPRsForWavesPerEU: 54
; NumVGPRsForWavesPerEU: 19
; Occupancy: 10
; WaveLimiterHint : 1
; COMPUTE_PGM_RSRC2:SCRATCH_EN: 0
; COMPUTE_PGM_RSRC2:USER_SGPR: 6
; COMPUTE_PGM_RSRC2:TRAP_HANDLER: 0
; COMPUTE_PGM_RSRC2:TGID_X_EN: 1
; COMPUTE_PGM_RSRC2:TGID_Y_EN: 0
; COMPUTE_PGM_RSRC2:TGID_Z_EN: 0
; COMPUTE_PGM_RSRC2:TIDIG_COMP_CNT: 0
	.section	.text._ZN2at6native12_GLOBAL__N_144conv_depthwise3d_cuda_backward_weight_kernelIN3c108BFloat16EfLin1ELin1EEEvN5torch10headeronly6detail27GenericPackedTensorAccessorINS7_14TensorAccessorINS3_8ArrayRefIlEEKT_Lm4ENS6_16DefaultPtrTraitsEiEENS_6detail16IndexBoundsCheckILm5EiEESD_Lm5ESE_iEESJ_NS8_INS9_ISB_SC_Lm4ESE_iEESI_SC_Lm5ESE_iEEiiiiiiiii,"axG",@progbits,_ZN2at6native12_GLOBAL__N_144conv_depthwise3d_cuda_backward_weight_kernelIN3c108BFloat16EfLin1ELin1EEEvN5torch10headeronly6detail27GenericPackedTensorAccessorINS7_14TensorAccessorINS3_8ArrayRefIlEEKT_Lm4ENS6_16DefaultPtrTraitsEiEENS_6detail16IndexBoundsCheckILm5EiEESD_Lm5ESE_iEESJ_NS8_INS9_ISB_SC_Lm4ESE_iEESI_SC_Lm5ESE_iEEiiiiiiiii,comdat
	.globl	_ZN2at6native12_GLOBAL__N_144conv_depthwise3d_cuda_backward_weight_kernelIN3c108BFloat16EfLin1ELin1EEEvN5torch10headeronly6detail27GenericPackedTensorAccessorINS7_14TensorAccessorINS3_8ArrayRefIlEEKT_Lm4ENS6_16DefaultPtrTraitsEiEENS_6detail16IndexBoundsCheckILm5EiEESD_Lm5ESE_iEESJ_NS8_INS9_ISB_SC_Lm4ESE_iEESI_SC_Lm5ESE_iEEiiiiiiiii ; -- Begin function _ZN2at6native12_GLOBAL__N_144conv_depthwise3d_cuda_backward_weight_kernelIN3c108BFloat16EfLin1ELin1EEEvN5torch10headeronly6detail27GenericPackedTensorAccessorINS7_14TensorAccessorINS3_8ArrayRefIlEEKT_Lm4ENS6_16DefaultPtrTraitsEiEENS_6detail16IndexBoundsCheckILm5EiEESD_Lm5ESE_iEESJ_NS8_INS9_ISB_SC_Lm4ESE_iEESI_SC_Lm5ESE_iEEiiiiiiiii
	.p2align	8
	.type	_ZN2at6native12_GLOBAL__N_144conv_depthwise3d_cuda_backward_weight_kernelIN3c108BFloat16EfLin1ELin1EEEvN5torch10headeronly6detail27GenericPackedTensorAccessorINS7_14TensorAccessorINS3_8ArrayRefIlEEKT_Lm4ENS6_16DefaultPtrTraitsEiEENS_6detail16IndexBoundsCheckILm5EiEESD_Lm5ESE_iEESJ_NS8_INS9_ISB_SC_Lm4ESE_iEESI_SC_Lm5ESE_iEEiiiiiiiii,@function
_ZN2at6native12_GLOBAL__N_144conv_depthwise3d_cuda_backward_weight_kernelIN3c108BFloat16EfLin1ELin1EEEvN5torch10headeronly6detail27GenericPackedTensorAccessorINS7_14TensorAccessorINS3_8ArrayRefIlEEKT_Lm4ENS6_16DefaultPtrTraitsEiEENS_6detail16IndexBoundsCheckILm5EiEESD_Lm5ESE_iEESJ_NS8_INS9_ISB_SC_Lm4ESE_iEESI_SC_Lm5ESE_iEEiiiiiiiii: ; @_ZN2at6native12_GLOBAL__N_144conv_depthwise3d_cuda_backward_weight_kernelIN3c108BFloat16EfLin1ELin1EEEvN5torch10headeronly6detail27GenericPackedTensorAccessorINS7_14TensorAccessorINS3_8ArrayRefIlEEKT_Lm4ENS6_16DefaultPtrTraitsEiEENS_6detail16IndexBoundsCheckILm5EiEESD_Lm5ESE_iEESJ_NS8_INS9_ISB_SC_Lm4ESE_iEESI_SC_Lm5ESE_iEEiiiiiiiii
; %bb.0:
	s_load_dwordx4 s[16:19], s[4:5], 0x70
	s_add_u32 s28, s4, 0x60
	s_addc_u32 s29, s5, 0
	s_load_dwordx4 s[20:23], s[4:5], 0x3c
	s_load_dwordx4 s[24:27], s[4:5], 0xc
	s_waitcnt lgkmcnt(0)
	v_cvt_f32_u32_e32 v1, s18
	v_cvt_f32_u32_e32 v2, s17
	s_sub_i32 s0, 0, s18
	v_rcp_iflag_f32_e32 v1, v1
	v_rcp_iflag_f32_e32 v2, v2
	v_mul_f32_e32 v1, 0x4f7ffffe, v1
	v_cvt_u32_f32_e32 v1, v1
	v_mul_f32_e32 v2, 0x4f7ffffe, v2
	v_cvt_u32_f32_e32 v2, v2
	v_readfirstlane_b32 s1, v1
	s_mul_i32 s0, s0, s1
	s_mul_hi_u32 s0, s1, s0
	s_add_i32 s1, s1, s0
	s_mul_hi_u32 s0, s6, s1
	s_mul_i32 s1, s0, s18
	s_sub_i32 s1, s6, s1
	s_add_i32 s3, s0, 1
	s_sub_i32 s7, s1, s18
	s_cmp_ge_u32 s1, s18
	s_cselect_b32 s0, s3, s0
	s_cselect_b32 s1, s7, s1
	s_add_i32 s3, s0, 1
	s_cmp_ge_u32 s1, s18
	v_cvt_f32_u32_e32 v1, s16
	v_readfirstlane_b32 s2, v2
	s_cselect_b32 s0, s3, s0
	s_sub_i32 s1, 0, s17
	s_mul_i32 s1, s1, s2
	s_mul_hi_u32 s1, s2, s1
	s_add_i32 s2, s2, s1
	v_rcp_iflag_f32_e32 v1, v1
	s_mul_hi_u32 s1, s0, s2
	s_mul_i32 s2, s1, s17
	s_sub_i32 s2, s0, s2
	s_add_i32 s3, s1, 1
	s_sub_i32 s7, s2, s17
	v_mul_f32_e32 v1, 0x4f7ffffe, v1
	s_cmp_ge_u32 s2, s17
	v_cvt_u32_f32_e32 v1, v1
	s_cselect_b32 s1, s3, s1
	s_cselect_b32 s2, s7, s2
	s_add_i32 s3, s1, 1
	s_cmp_ge_u32 s2, s17
	s_cselect_b32 s7, s3, s1
	s_sub_i32 s1, 0, s16
	v_readfirstlane_b32 s2, v1
	s_mul_i32 s1, s1, s2
	s_mul_hi_u32 s1, s2, s1
	s_add_i32 s2, s2, s1
	s_mul_hi_u32 s1, s7, s2
	s_mul_i32 s2, s1, s16
	s_sub_i32 s2, s7, s2
	s_add_i32 s3, s1, 1
	s_sub_i32 s8, s2, s16
	s_cmp_ge_u32 s2, s16
	s_cselect_b32 s1, s3, s1
	s_cselect_b32 s2, s8, s2
	s_add_i32 s3, s1, 1
	s_cmp_ge_u32 s2, s16
	s_cselect_b32 s33, s3, s1
	s_abs_i32 s1, s20
	v_cvt_f32_u32_e32 v1, s1
	s_sub_i32 s8, 0, s1
	s_abs_i32 s3, s24
	s_xor_b32 s2, s24, s20
	v_rcp_iflag_f32_e32 v1, v1
	s_ashr_i32 s2, s2, 31
	v_mul_f32_e32 v1, 0x4f7ffffe, v1
	v_cvt_u32_f32_e32 v1, v1
	v_readfirstlane_b32 s9, v1
	s_mul_i32 s8, s8, s9
	s_mul_hi_u32 s8, s9, s8
	s_add_i32 s9, s9, s8
	s_mul_hi_u32 s8, s3, s9
	s_mul_i32 s9, s8, s1
	s_sub_i32 s3, s3, s9
	s_add_i32 s9, s8, 1
	s_sub_i32 s10, s3, s1
	s_cmp_ge_u32 s3, s1
	s_cselect_b32 s8, s9, s8
	s_cselect_b32 s3, s10, s3
	s_add_i32 s9, s8, 1
	s_cmp_ge_u32 s3, s1
	s_cselect_b32 s1, s9, s8
	s_xor_b32 s1, s1, s2
	s_sub_i32 s31, s1, s2
	s_abs_i32 s30, s31
	v_cvt_f32_u32_e32 v1, s30
	s_load_dword s1, s[4:5], 0x68
	v_rcp_iflag_f32_e32 v1, v1
	s_waitcnt lgkmcnt(0)
	s_cmp_ge_i32 s33, s1
	v_mul_f32_e32 v1, 0x4f7ffffe, v1
	v_cvt_u32_f32_e32 v1, v1
	v_readfirstlane_b32 s36, v1
	s_cbranch_scc1 .LBB43_32
; %bb.1:
	s_mul_i32 s1, s0, s18
	s_sub_i32 s18, s6, s1
	s_mul_i32 s1, s7, s17
	s_load_dwordx2 s[34:35], s[28:29], 0x0
	s_load_dwordx8 s[8:15], s[28:29], 0x24
	s_sub_i32 s20, s0, s1
	s_load_dwordx4 s[0:3], s[28:29], 0x44
	s_load_dword s6, s[4:5], 0xc4
	s_load_dword s47, s[4:5], 0x38
	s_mul_i32 s16, s33, s16
	v_lshrrev_b32_e32 v4, 6, v0
	s_sub_i32 s24, s7, s16
	s_waitcnt lgkmcnt(0)
	s_and_b32 s46, s6, 0xffff
	s_mul_i32 s47, s47, s25
	v_cmp_gt_i32_e32 vcc, s47, v4
	v_mov_b32_e32 v8, 0
	s_and_saveexec_b64 s[6:7], vcc
	s_cbranch_execz .LBB43_23
; %bb.2:
	s_sub_i32 s29, 0, s30
	s_mul_i32 s29, s29, s36
	s_mul_hi_u32 s29, s36, s29
	s_abs_i32 s28, s33
	s_add_i32 s36, s36, s29
	s_ashr_i32 s16, s33, 31
	s_ashr_i32 s17, s31, 31
	s_mul_hi_u32 s29, s28, s36
	s_xor_b32 s36, s16, s17
	s_mul_i32 s16, s29, s30
	s_sub_i32 s16, s28, s16
	s_lshr_b32 s48, s46, 6
	s_add_i32 s17, s29, 1
	s_sub_i32 s28, s16, s30
	s_cmp_ge_u32 s16, s30
	s_cselect_b32 s17, s17, s29
	s_cselect_b32 s16, s28, s16
	s_add_i32 s28, s17, 1
	s_cmp_ge_u32 s16, s30
	s_cselect_b32 s37, s28, s17
	s_abs_i32 s44, s25
	v_cvt_f32_u32_e32 v1, s44
	s_sub_i32 s16, 0, s44
	s_mul_i32 s1, s24, s1
	s_ashr_i32 s45, s25, 31
	v_rcp_iflag_f32_e32 v1, v1
	v_and_b32_e32 v8, 63, v0
	s_mul_i32 s3, s18, s3
	v_mov_b32_e32 v7, 0
	v_mul_f32_e32 v1, 0x4f7ffffe, v1
	v_cvt_u32_f32_e32 v1, v1
	v_lshlrev_b32_e32 v11, 1, v8
	v_mul_lo_u32 v2, s16, v1
	s_load_dwordx4 s[28:31], s[4:5], 0x1c
	s_load_dwordx2 s[16:17], s[4:5], 0x0
	v_mul_hi_u32 v2, v1, v2
	s_waitcnt lgkmcnt(0)
	s_mul_i32 s40, s29, s33
	s_sub_i32 s29, s1, s14
	s_xor_b32 s1, s37, s36
	s_sub_i32 s1, s1, s36
	s_load_dwordx2 s[42:43], s[4:5], 0x30
	s_load_dwordx4 s[36:39], s[4:5], 0x4c
	s_ashr_i32 s41, s40, 31
	s_lshl_b64 s[4:5], s[40:41], 1
	s_add_u32 s31, s16, s4
	s_waitcnt lgkmcnt(0)
	s_addc_u32 s39, s17, s5
	s_mul_i32 s4, s37, s1
	s_ashr_i32 s5, s4, 31
	s_lshl_b64 s[4:5], s[4:5], 1
	s_add_u32 s37, s42, s4
	s_addc_u32 s49, s43, s5
	s_abs_i32 s1, s27
	v_cvt_f32_u32_e32 v3, s1
	v_add_u32_e32 v1, v1, v2
	v_mul_hi_u32 v1, v4, v1
	s_sub_i32 s4, 0, s1
	v_rcp_iflag_f32_e32 v3, v3
	s_sub_i32 s50, s3, s0
	v_mul_lo_u32 v2, v1, s44
	v_add_u32_e32 v5, 1, v1
	v_mul_f32_e32 v3, 0x4f7ffffe, v3
	v_cvt_u32_f32_e32 v3, v3
	v_sub_u32_e32 v2, v4, v2
	v_cmp_le_u32_e32 vcc, s44, v2
	v_cndmask_b32_e32 v1, v1, v5, vcc
	v_subrev_u32_e32 v5, s44, v2
	v_cndmask_b32_e32 v2, v2, v5, vcc
	v_mul_lo_u32 v5, s4, v3
	v_cmp_le_u32_e32 vcc, s44, v2
	v_add_u32_e32 v6, 1, v1
	v_cndmask_b32_e32 v1, v1, v6, vcc
	v_mul_hi_u32 v2, v3, v5
	v_xor_b32_e32 v1, s45, v1
	v_subrev_u32_e32 v5, s45, v1
	v_mul_lo_u32 v1, v5, s25
	v_add_u32_e32 v2, v3, v2
	v_mul_hi_u32 v2, v8, v2
	s_ashr_i32 s0, s27, 31
	v_sub_u32_e32 v6, v4, v1
	v_mul_lo_u32 v1, v2, s1
	v_add_u32_e32 v3, 1, v2
	v_sub_u32_e32 v1, v8, v1
	v_cmp_le_u32_e32 vcc, s1, v1
	v_cndmask_b32_e32 v2, v2, v3, vcc
	v_subrev_u32_e32 v3, s1, v1
	v_cndmask_b32_e32 v1, v1, v3, vcc
	v_add_u32_e32 v3, 1, v2
	v_cmp_le_u32_e32 vcc, s1, v1
	v_cndmask_b32_e32 v1, v2, v3, vcc
	v_xor_b32_e32 v1, s0, v1
	v_subrev_u32_e32 v9, s0, v1
	v_mul_lo_u32 v1, v9, s27
	s_mul_i32 s0, s20, s2
	s_sub_i32 s51, s0, s15
	v_cmp_gt_i32_e64 s[0:1], s26, v9
	v_sub_u32_e32 v10, v8, v1
	s_mov_b64 s[14:15], 0
	v_mov_b32_e32 v8, 0
	s_branch .LBB43_6
.LBB43_3:                               ;   in Loop: Header=BB43_6 Depth=1
	s_or_b64 exec, exec, s[42:43]
.LBB43_4:                               ;   in Loop: Header=BB43_6 Depth=1
	s_or_b64 exec, exec, s[40:41]
.LBB43_5:                               ;   in Loop: Header=BB43_6 Depth=1
	s_or_b64 exec, exec, s[16:17]
	v_add_u32_e32 v4, s48, v4
	v_cmp_le_i32_e32 vcc, s47, v4
	s_or_b64 s[14:15], vcc, s[14:15]
	v_add_u32_e32 v6, s48, v6
	s_andn2_b64 exec, exec, s[14:15]
	s_cbranch_execz .LBB43_22
.LBB43_6:                               ; =>This Loop Header: Depth=1
                                        ;     Child Loop BB43_8 Depth 2
                                        ;     Child Loop BB43_14 Depth 2
                                        ;       Child Loop BB43_20 Depth 3
	v_cmp_le_i32_e32 vcc, s25, v6
	s_and_saveexec_b64 s[2:3], vcc
	s_cbranch_execz .LBB43_10
; %bb.7:                                ;   in Loop: Header=BB43_6 Depth=1
	s_mov_b64 s[4:5], 0
.LBB43_8:                               ;   Parent Loop BB43_6 Depth=1
                                        ; =>  This Inner Loop Header: Depth=2
	v_subrev_u32_e32 v6, s25, v6
	v_cmp_gt_i32_e32 vcc, s25, v6
	s_or_b64 s[4:5], vcc, s[4:5]
	v_add_u32_e32 v5, 1, v5
	s_andn2_b64 exec, exec, s[4:5]
	s_cbranch_execnz .LBB43_8
; %bb.9:                                ;   in Loop: Header=BB43_6 Depth=1
	s_or_b64 exec, exec, s[4:5]
.LBB43_10:                              ;   in Loop: Header=BB43_6 Depth=1
	s_or_b64 exec, exec, s[2:3]
	v_mul_lo_u32 v1, v6, s11
	v_add_u32_e32 v1, s29, v1
	v_cmp_lt_i32_e32 vcc, -1, v1
	v_cmp_gt_i32_e64 s[2:3], s21, v1
	s_and_b64 s[2:3], vcc, s[2:3]
	s_and_saveexec_b64 s[16:17], s[2:3]
	s_cbranch_execz .LBB43_5
; %bb.11:                               ;   in Loop: Header=BB43_6 Depth=1
	s_and_saveexec_b64 s[40:41], s[0:1]
	s_cbranch_execz .LBB43_4
; %bb.12:                               ;   in Loop: Header=BB43_6 Depth=1
	v_mul_lo_u32 v2, s36, v5
	v_mul_lo_u32 v1, s38, v1
	;; [unrolled: 1-line block ×3, first 2 shown]
	v_mov_b32_e32 v12, s49
	v_ashrrev_i32_e32 v3, 31, v2
	v_lshlrev_b64 v[2:3], 1, v[2:3]
	v_ashrrev_i32_e32 v15, 31, v14
	v_add_co_u32_e32 v13, vcc, s37, v2
	v_ashrrev_i32_e32 v2, 31, v1
	v_lshlrev_b64 v[1:2], 1, v[1:2]
	v_addc_co_u32_e32 v3, vcc, v12, v3, vcc
	v_add_co_u32_e32 v12, vcc, v13, v1
	v_addc_co_u32_e32 v13, vcc, v3, v2, vcc
	v_lshlrev_b64 v[1:2], 1, v[14:15]
	v_mul_lo_u32 v14, s30, v6
	v_mov_b32_e32 v3, s39
	v_add_co_u32_e32 v16, vcc, s31, v1
	v_ashrrev_i32_e32 v15, 31, v14
	v_addc_co_u32_e32 v3, vcc, v3, v2, vcc
	v_lshlrev_b64 v[1:2], 1, v[14:15]
	s_mov_b64 s[42:43], 0
	v_add_co_u32_e32 v1, vcc, v16, v1
	v_addc_co_u32_e32 v2, vcc, v3, v2, vcc
	v_add_co_u32_e32 v1, vcc, v1, v11
	v_addc_co_u32_e32 v2, vcc, 0, v2, vcc
	v_mov_b32_e32 v14, v10
	v_mov_b32_e32 v15, v9
	s_branch .LBB43_14
.LBB43_13:                              ;   in Loop: Header=BB43_14 Depth=2
	s_or_b64 exec, exec, s[2:3]
	v_add_co_u32_e32 v1, vcc, 0x80, v1
	v_addc_co_u32_e32 v2, vcc, 0, v2, vcc
	s_waitcnt vmcnt(0)
	v_lshlrev_b32_e32 v3, 16, v16
	v_cmp_le_i32_e32 vcc, s26, v15
	s_or_b64 s[42:43], vcc, s[42:43]
	v_fmac_f32_e32 v8, v17, v3
	s_andn2_b64 exec, exec, s[42:43]
	s_cbranch_execz .LBB43_3
.LBB43_14:                              ;   Parent Loop BB43_6 Depth=1
                                        ; =>  This Loop Header: Depth=2
                                        ;       Child Loop BB43_20 Depth 3
	global_load_ushort v16, v[1:2], off
	v_mul_lo_u32 v3, v14, s13
	v_mov_b32_e32 v17, 0
	v_add_u32_e32 v3, s50, v3
	v_cmp_lt_i32_e32 vcc, -1, v3
	s_and_saveexec_b64 s[44:45], vcc
	s_cbranch_execz .LBB43_18
; %bb.15:                               ;   in Loop: Header=BB43_14 Depth=2
	v_mul_lo_u32 v17, v15, s12
	v_cmp_gt_i32_e32 vcc, s23, v3
	v_add_u32_e32 v18, s51, v17
	v_cmp_gt_i32_e64 s[4:5], s22, v18
	v_cmp_lt_i32_e64 s[2:3], -1, v18
	s_and_b64 s[4:5], vcc, s[4:5]
	s_and_b64 s[4:5], s[4:5], s[2:3]
	v_mov_b32_e32 v17, 0
	s_and_saveexec_b64 s[2:3], s[4:5]
	s_cbranch_execz .LBB43_17
; %bb.16:                               ;   in Loop: Header=BB43_14 Depth=2
	v_mad_u64_u32 v[17:18], s[4:5], v18, s23, v[3:4]
	v_mov_b32_e32 v18, v7
	v_lshlrev_b64 v[17:18], 1, v[17:18]
	v_add_co_u32_e32 v17, vcc, v12, v17
	v_addc_co_u32_e32 v18, vcc, v13, v18, vcc
	global_load_ushort v3, v[17:18], off
	s_waitcnt vmcnt(0)
	v_lshlrev_b32_e32 v17, 16, v3
.LBB43_17:                              ;   in Loop: Header=BB43_14 Depth=2
	s_or_b64 exec, exec, s[2:3]
.LBB43_18:                              ;   in Loop: Header=BB43_14 Depth=2
	s_or_b64 exec, exec, s[44:45]
	v_add_u32_e32 v14, 64, v14
	v_cmp_le_i32_e32 vcc, s27, v14
	s_and_saveexec_b64 s[2:3], vcc
	s_cbranch_execz .LBB43_13
; %bb.19:                               ;   in Loop: Header=BB43_14 Depth=2
	s_mov_b64 s[4:5], 0
.LBB43_20:                              ;   Parent Loop BB43_6 Depth=1
                                        ;     Parent Loop BB43_14 Depth=2
                                        ; =>    This Inner Loop Header: Depth=3
	v_subrev_u32_e32 v14, s27, v14
	v_cmp_gt_i32_e32 vcc, s27, v14
	s_or_b64 s[4:5], vcc, s[4:5]
	v_add_u32_e32 v15, 1, v15
	s_andn2_b64 exec, exec, s[4:5]
	s_cbranch_execnz .LBB43_20
; %bb.21:                               ;   in Loop: Header=BB43_14 Depth=2
	s_or_b64 exec, exec, s[4:5]
	s_branch .LBB43_13
.LBB43_22:
	s_or_b64 exec, exec, s[14:15]
.LBB43_23:
	s_or_b64 exec, exec, s[6:7]
	v_bfe_u32 v1, v8, 16, 1
	s_movk_i32 s0, 0x7fff
	v_add3_u32 v1, v8, v1, s0
	v_cmp_o_f32_e32 vcc, v8, v8
	v_mov_b32_e32 v2, 0x7fc0
	s_bcnt1_i32_b32 s0, s46
	v_cndmask_b32_sdwa v2, v2, v1, vcc dst_sel:DWORD dst_unused:UNUSED_PAD src0_sel:DWORD src1_sel:WORD_1
	v_lshl_add_u32 v1, v0, 1, 0
	s_cmp_lg_u32 s0, 1
	s_mov_b64 s[0:1], -1
	ds_write_b16 v1, v2
	s_waitcnt lgkmcnt(0)
	s_barrier
	s_cbranch_scc1 .LBB43_33
; %bb.24:
	s_andn2_b64 vcc, exec, s[0:1]
	s_cbranch_vccnz .LBB43_32
.LBB43_25:
	s_cmp_lt_u32 s46, 2
	s_cbranch_scc1 .LBB43_30
; %bb.26:
	s_movk_i32 s2, 0x7fff
	v_mov_b32_e32 v2, 0x7fc0
	s_branch .LBB43_28
.LBB43_27:                              ;   in Loop: Header=BB43_28 Depth=1
	s_or_b64 exec, exec, s[0:1]
	s_cmp_lt_u32 s46, 4
	s_mov_b32 s46, s3
	s_waitcnt lgkmcnt(0)
	s_barrier
	s_cbranch_scc1 .LBB43_30
.LBB43_28:                              ; =>This Inner Loop Header: Depth=1
	s_lshr_b32 s3, s46, 1
	v_cmp_gt_u32_e32 vcc, s3, v0
	s_and_saveexec_b64 s[0:1], vcc
	s_cbranch_execz .LBB43_27
; %bb.29:                               ;   in Loop: Header=BB43_28 Depth=1
	v_lshl_add_u32 v3, s3, 1, v1
	ds_read_u16 v3, v3
	ds_read_u16 v4, v1
	s_waitcnt lgkmcnt(1)
	v_lshlrev_b32_e32 v3, 16, v3
	s_waitcnt lgkmcnt(0)
	v_lshlrev_b32_e32 v4, 16, v4
	v_add_f32_e32 v3, v3, v4
	v_bfe_u32 v4, v3, 16, 1
	v_cmp_o_f32_e32 vcc, v3, v3
	v_add3_u32 v3, v3, v4, s2
	v_cndmask_b32_sdwa v3, v2, v3, vcc dst_sel:DWORD dst_unused:UNUSED_PAD src0_sel:DWORD src1_sel:WORD_1
	ds_write_b16 v1, v3
	s_branch .LBB43_27
.LBB43_30:
	v_cmp_eq_u32_e32 vcc, 0, v0
	s_and_saveexec_b64 s[0:1], vcc
	s_cbranch_execz .LBB43_32
; %bb.31:
	s_mul_i32 s0, s19, s33
	s_ashr_i32 s1, s0, 31
	s_lshl_b64 s[0:1], s[0:1], 1
	s_add_u32 s2, s34, s0
	s_mul_i32 s0, s8, s24
	s_addc_u32 s3, s35, s1
	s_ashr_i32 s1, s0, 31
	s_lshl_b64 s[0:1], s[0:1], 1
	s_add_u32 s2, s2, s0
	s_mul_i32 s0, s9, s20
	s_addc_u32 s3, s3, s1
	s_ashr_i32 s1, s0, 31
	s_lshl_b64 s[0:1], s[0:1], 1
	v_mov_b32_e32 v0, 0
	s_add_u32 s2, s2, s0
	s_mul_i32 s0, s10, s18
	ds_read_u16 v1, v0
	s_addc_u32 s3, s3, s1
	s_ashr_i32 s1, s0, 31
	s_lshl_b64 s[0:1], s[0:1], 1
	s_add_u32 s0, s2, s0
	s_addc_u32 s1, s3, s1
	s_waitcnt lgkmcnt(0)
	global_store_short v0, v1, s[0:1]
.LBB43_32:
	s_endpgm
.LBB43_33:
	s_trap 2
	; divergent unreachable
	s_cbranch_execz .LBB43_25
	s_branch .LBB43_32
	.section	.rodata,"a",@progbits
	.p2align	6, 0x0
	.amdhsa_kernel _ZN2at6native12_GLOBAL__N_144conv_depthwise3d_cuda_backward_weight_kernelIN3c108BFloat16EfLin1ELin1EEEvN5torch10headeronly6detail27GenericPackedTensorAccessorINS7_14TensorAccessorINS3_8ArrayRefIlEEKT_Lm4ENS6_16DefaultPtrTraitsEiEENS_6detail16IndexBoundsCheckILm5EiEESD_Lm5ESE_iEESJ_NS8_INS9_ISB_SC_Lm4ESE_iEESI_SC_Lm5ESE_iEEiiiiiiiii
		.amdhsa_group_segment_fixed_size 0
		.amdhsa_private_segment_fixed_size 0
		.amdhsa_kernarg_size 440
		.amdhsa_user_sgpr_count 6
		.amdhsa_user_sgpr_private_segment_buffer 1
		.amdhsa_user_sgpr_dispatch_ptr 0
		.amdhsa_user_sgpr_queue_ptr 0
		.amdhsa_user_sgpr_kernarg_segment_ptr 1
		.amdhsa_user_sgpr_dispatch_id 0
		.amdhsa_user_sgpr_flat_scratch_init 0
		.amdhsa_user_sgpr_private_segment_size 0
		.amdhsa_uses_dynamic_stack 0
		.amdhsa_system_sgpr_private_segment_wavefront_offset 0
		.amdhsa_system_sgpr_workgroup_id_x 1
		.amdhsa_system_sgpr_workgroup_id_y 0
		.amdhsa_system_sgpr_workgroup_id_z 0
		.amdhsa_system_sgpr_workgroup_info 0
		.amdhsa_system_vgpr_workitem_id 0
		.amdhsa_next_free_vgpr 19
		.amdhsa_next_free_sgpr 52
		.amdhsa_reserve_vcc 1
		.amdhsa_reserve_flat_scratch 0
		.amdhsa_float_round_mode_32 0
		.amdhsa_float_round_mode_16_64 0
		.amdhsa_float_denorm_mode_32 3
		.amdhsa_float_denorm_mode_16_64 3
		.amdhsa_dx10_clamp 1
		.amdhsa_ieee_mode 1
		.amdhsa_fp16_overflow 0
		.amdhsa_exception_fp_ieee_invalid_op 0
		.amdhsa_exception_fp_denorm_src 0
		.amdhsa_exception_fp_ieee_div_zero 0
		.amdhsa_exception_fp_ieee_overflow 0
		.amdhsa_exception_fp_ieee_underflow 0
		.amdhsa_exception_fp_ieee_inexact 0
		.amdhsa_exception_int_div_zero 0
	.end_amdhsa_kernel
	.section	.text._ZN2at6native12_GLOBAL__N_144conv_depthwise3d_cuda_backward_weight_kernelIN3c108BFloat16EfLin1ELin1EEEvN5torch10headeronly6detail27GenericPackedTensorAccessorINS7_14TensorAccessorINS3_8ArrayRefIlEEKT_Lm4ENS6_16DefaultPtrTraitsEiEENS_6detail16IndexBoundsCheckILm5EiEESD_Lm5ESE_iEESJ_NS8_INS9_ISB_SC_Lm4ESE_iEESI_SC_Lm5ESE_iEEiiiiiiiii,"axG",@progbits,_ZN2at6native12_GLOBAL__N_144conv_depthwise3d_cuda_backward_weight_kernelIN3c108BFloat16EfLin1ELin1EEEvN5torch10headeronly6detail27GenericPackedTensorAccessorINS7_14TensorAccessorINS3_8ArrayRefIlEEKT_Lm4ENS6_16DefaultPtrTraitsEiEENS_6detail16IndexBoundsCheckILm5EiEESD_Lm5ESE_iEESJ_NS8_INS9_ISB_SC_Lm4ESE_iEESI_SC_Lm5ESE_iEEiiiiiiiii,comdat
.Lfunc_end43:
	.size	_ZN2at6native12_GLOBAL__N_144conv_depthwise3d_cuda_backward_weight_kernelIN3c108BFloat16EfLin1ELin1EEEvN5torch10headeronly6detail27GenericPackedTensorAccessorINS7_14TensorAccessorINS3_8ArrayRefIlEEKT_Lm4ENS6_16DefaultPtrTraitsEiEENS_6detail16IndexBoundsCheckILm5EiEESD_Lm5ESE_iEESJ_NS8_INS9_ISB_SC_Lm4ESE_iEESI_SC_Lm5ESE_iEEiiiiiiiii, .Lfunc_end43-_ZN2at6native12_GLOBAL__N_144conv_depthwise3d_cuda_backward_weight_kernelIN3c108BFloat16EfLin1ELin1EEEvN5torch10headeronly6detail27GenericPackedTensorAccessorINS7_14TensorAccessorINS3_8ArrayRefIlEEKT_Lm4ENS6_16DefaultPtrTraitsEiEENS_6detail16IndexBoundsCheckILm5EiEESD_Lm5ESE_iEESJ_NS8_INS9_ISB_SC_Lm4ESE_iEESI_SC_Lm5ESE_iEEiiiiiiiii
                                        ; -- End function
	.set _ZN2at6native12_GLOBAL__N_144conv_depthwise3d_cuda_backward_weight_kernelIN3c108BFloat16EfLin1ELin1EEEvN5torch10headeronly6detail27GenericPackedTensorAccessorINS7_14TensorAccessorINS3_8ArrayRefIlEEKT_Lm4ENS6_16DefaultPtrTraitsEiEENS_6detail16IndexBoundsCheckILm5EiEESD_Lm5ESE_iEESJ_NS8_INS9_ISB_SC_Lm4ESE_iEESI_SC_Lm5ESE_iEEiiiiiiiii.num_vgpr, 19
	.set _ZN2at6native12_GLOBAL__N_144conv_depthwise3d_cuda_backward_weight_kernelIN3c108BFloat16EfLin1ELin1EEEvN5torch10headeronly6detail27GenericPackedTensorAccessorINS7_14TensorAccessorINS3_8ArrayRefIlEEKT_Lm4ENS6_16DefaultPtrTraitsEiEENS_6detail16IndexBoundsCheckILm5EiEESD_Lm5ESE_iEESJ_NS8_INS9_ISB_SC_Lm4ESE_iEESI_SC_Lm5ESE_iEEiiiiiiiii.num_agpr, 0
	.set _ZN2at6native12_GLOBAL__N_144conv_depthwise3d_cuda_backward_weight_kernelIN3c108BFloat16EfLin1ELin1EEEvN5torch10headeronly6detail27GenericPackedTensorAccessorINS7_14TensorAccessorINS3_8ArrayRefIlEEKT_Lm4ENS6_16DefaultPtrTraitsEiEENS_6detail16IndexBoundsCheckILm5EiEESD_Lm5ESE_iEESJ_NS8_INS9_ISB_SC_Lm4ESE_iEESI_SC_Lm5ESE_iEEiiiiiiiii.numbered_sgpr, 52
	.set _ZN2at6native12_GLOBAL__N_144conv_depthwise3d_cuda_backward_weight_kernelIN3c108BFloat16EfLin1ELin1EEEvN5torch10headeronly6detail27GenericPackedTensorAccessorINS7_14TensorAccessorINS3_8ArrayRefIlEEKT_Lm4ENS6_16DefaultPtrTraitsEiEENS_6detail16IndexBoundsCheckILm5EiEESD_Lm5ESE_iEESJ_NS8_INS9_ISB_SC_Lm4ESE_iEESI_SC_Lm5ESE_iEEiiiiiiiii.num_named_barrier, 0
	.set _ZN2at6native12_GLOBAL__N_144conv_depthwise3d_cuda_backward_weight_kernelIN3c108BFloat16EfLin1ELin1EEEvN5torch10headeronly6detail27GenericPackedTensorAccessorINS7_14TensorAccessorINS3_8ArrayRefIlEEKT_Lm4ENS6_16DefaultPtrTraitsEiEENS_6detail16IndexBoundsCheckILm5EiEESD_Lm5ESE_iEESJ_NS8_INS9_ISB_SC_Lm4ESE_iEESI_SC_Lm5ESE_iEEiiiiiiiii.private_seg_size, 0
	.set _ZN2at6native12_GLOBAL__N_144conv_depthwise3d_cuda_backward_weight_kernelIN3c108BFloat16EfLin1ELin1EEEvN5torch10headeronly6detail27GenericPackedTensorAccessorINS7_14TensorAccessorINS3_8ArrayRefIlEEKT_Lm4ENS6_16DefaultPtrTraitsEiEENS_6detail16IndexBoundsCheckILm5EiEESD_Lm5ESE_iEESJ_NS8_INS9_ISB_SC_Lm4ESE_iEESI_SC_Lm5ESE_iEEiiiiiiiii.uses_vcc, 1
	.set _ZN2at6native12_GLOBAL__N_144conv_depthwise3d_cuda_backward_weight_kernelIN3c108BFloat16EfLin1ELin1EEEvN5torch10headeronly6detail27GenericPackedTensorAccessorINS7_14TensorAccessorINS3_8ArrayRefIlEEKT_Lm4ENS6_16DefaultPtrTraitsEiEENS_6detail16IndexBoundsCheckILm5EiEESD_Lm5ESE_iEESJ_NS8_INS9_ISB_SC_Lm4ESE_iEESI_SC_Lm5ESE_iEEiiiiiiiii.uses_flat_scratch, 0
	.set _ZN2at6native12_GLOBAL__N_144conv_depthwise3d_cuda_backward_weight_kernelIN3c108BFloat16EfLin1ELin1EEEvN5torch10headeronly6detail27GenericPackedTensorAccessorINS7_14TensorAccessorINS3_8ArrayRefIlEEKT_Lm4ENS6_16DefaultPtrTraitsEiEENS_6detail16IndexBoundsCheckILm5EiEESD_Lm5ESE_iEESJ_NS8_INS9_ISB_SC_Lm4ESE_iEESI_SC_Lm5ESE_iEEiiiiiiiii.has_dyn_sized_stack, 0
	.set _ZN2at6native12_GLOBAL__N_144conv_depthwise3d_cuda_backward_weight_kernelIN3c108BFloat16EfLin1ELin1EEEvN5torch10headeronly6detail27GenericPackedTensorAccessorINS7_14TensorAccessorINS3_8ArrayRefIlEEKT_Lm4ENS6_16DefaultPtrTraitsEiEENS_6detail16IndexBoundsCheckILm5EiEESD_Lm5ESE_iEESJ_NS8_INS9_ISB_SC_Lm4ESE_iEESI_SC_Lm5ESE_iEEiiiiiiiii.has_recursion, 0
	.set _ZN2at6native12_GLOBAL__N_144conv_depthwise3d_cuda_backward_weight_kernelIN3c108BFloat16EfLin1ELin1EEEvN5torch10headeronly6detail27GenericPackedTensorAccessorINS7_14TensorAccessorINS3_8ArrayRefIlEEKT_Lm4ENS6_16DefaultPtrTraitsEiEENS_6detail16IndexBoundsCheckILm5EiEESD_Lm5ESE_iEESJ_NS8_INS9_ISB_SC_Lm4ESE_iEESI_SC_Lm5ESE_iEEiiiiiiiii.has_indirect_call, 0
	.section	.AMDGPU.csdata,"",@progbits
; Kernel info:
; codeLenInByte = 1904
; TotalNumSgprs: 56
; NumVgprs: 19
; ScratchSize: 0
; MemoryBound: 0
; FloatMode: 240
; IeeeMode: 1
; LDSByteSize: 0 bytes/workgroup (compile time only)
; SGPRBlocks: 6
; VGPRBlocks: 4
; NumSGPRsForWavesPerEU: 56
; NumVGPRsForWavesPerEU: 19
; Occupancy: 10
; WaveLimiterHint : 1
; COMPUTE_PGM_RSRC2:SCRATCH_EN: 0
; COMPUTE_PGM_RSRC2:USER_SGPR: 6
; COMPUTE_PGM_RSRC2:TRAP_HANDLER: 0
; COMPUTE_PGM_RSRC2:TGID_X_EN: 1
; COMPUTE_PGM_RSRC2:TGID_Y_EN: 0
; COMPUTE_PGM_RSRC2:TGID_Z_EN: 0
; COMPUTE_PGM_RSRC2:TIDIG_COMP_CNT: 0
	.section	.AMDGPU.gpr_maximums,"",@progbits
	.set amdgpu.max_num_vgpr, 0
	.set amdgpu.max_num_agpr, 0
	.set amdgpu.max_num_sgpr, 0
	.section	.AMDGPU.csdata,"",@progbits
	.type	__hip_cuid_8d1940a4cfd6e85f,@object ; @__hip_cuid_8d1940a4cfd6e85f
	.section	.bss,"aw",@nobits
	.globl	__hip_cuid_8d1940a4cfd6e85f
__hip_cuid_8d1940a4cfd6e85f:
	.byte	0                               ; 0x0
	.size	__hip_cuid_8d1940a4cfd6e85f, 1

	.ident	"AMD clang version 22.0.0git (https://github.com/RadeonOpenCompute/llvm-project roc-7.2.4 26084 f58b06dce1f9c15707c5f808fd002e18c2accf7e)"
	.section	".note.GNU-stack","",@progbits
	.addrsig
	.addrsig_sym __hip_cuid_8d1940a4cfd6e85f
	.amdgpu_metadata
---
amdhsa.kernels:
  - .args:
      - .offset:         0
        .size:           48
        .value_kind:     by_value
      - .offset:         48
        .size:           48
        .value_kind:     by_value
      - .offset:         96
        .size:           48
        .value_kind:     by_value
      - .address_space:  global
        .offset:         144
        .size:           8
        .value_kind:     global_buffer
      - .offset:         152
        .size:           4
        .value_kind:     by_value
      - .offset:         156
        .size:           4
        .value_kind:     by_value
      - .offset:         160
        .size:           4
        .value_kind:     by_value
      - .offset:         164
        .size:           4
        .value_kind:     by_value
      - .offset:         168
        .size:           4
        .value_kind:     by_value
      - .offset:         172
        .size:           4
        .value_kind:     by_value
      - .offset:         176
        .size:           4
        .value_kind:     by_value
      - .offset:         180
        .size:           4
        .value_kind:     by_value
      - .offset:         184
        .size:           4
        .value_kind:     by_value
      - .offset:         192
        .size:           4
        .value_kind:     hidden_block_count_x
      - .offset:         196
        .size:           4
        .value_kind:     hidden_block_count_y
      - .offset:         200
        .size:           4
        .value_kind:     hidden_block_count_z
      - .offset:         204
        .size:           2
        .value_kind:     hidden_group_size_x
      - .offset:         206
        .size:           2
        .value_kind:     hidden_group_size_y
      - .offset:         208
        .size:           2
        .value_kind:     hidden_group_size_z
      - .offset:         210
        .size:           2
        .value_kind:     hidden_remainder_x
      - .offset:         212
        .size:           2
        .value_kind:     hidden_remainder_y
      - .offset:         214
        .size:           2
        .value_kind:     hidden_remainder_z
      - .offset:         232
        .size:           8
        .value_kind:     hidden_global_offset_x
      - .offset:         240
        .size:           8
        .value_kind:     hidden_global_offset_y
      - .offset:         248
        .size:           8
        .value_kind:     hidden_global_offset_z
      - .offset:         256
        .size:           2
        .value_kind:     hidden_grid_dims
    .group_segment_fixed_size: 0
    .kernarg_segment_align: 8
    .kernarg_segment_size: 448
    .language:       OpenCL C
    .language_version:
      - 2
      - 0
    .max_flat_workgroup_size: 1024
    .name:           _ZN2at6native12_GLOBAL__N_128conv_depthwise3d_cuda_kernelIddLi3ELi3ELi3ELi1ELi1ELi1EEEvN5torch10headeronly6detail27GenericPackedTensorAccessorINS5_14TensorAccessorIN3c108ArrayRefIlEEKT_Lm4ENS4_16DefaultPtrTraitsEiEENS_6detail16IndexBoundsCheckILm5EiEESC_Lm5ESD_iEENS6_INS7_ISA_SB_Lm4ESD_iEESH_SB_Lm5ESD_iEESI_PSC_iiiiiiiii
    .private_segment_fixed_size: 0
    .sgpr_count:     92
    .sgpr_spill_count: 0
    .symbol:         _ZN2at6native12_GLOBAL__N_128conv_depthwise3d_cuda_kernelIddLi3ELi3ELi3ELi1ELi1ELi1EEEvN5torch10headeronly6detail27GenericPackedTensorAccessorINS5_14TensorAccessorIN3c108ArrayRefIlEEKT_Lm4ENS4_16DefaultPtrTraitsEiEENS_6detail16IndexBoundsCheckILm5EiEESC_Lm5ESD_iEENS6_INS7_ISA_SB_Lm4ESD_iEESH_SB_Lm5ESD_iEESI_PSC_iiiiiiiii.kd
    .uniform_work_group_size: 1
    .uses_dynamic_stack: false
    .vgpr_count:     28
    .vgpr_spill_count: 0
    .wavefront_size: 64
  - .args:
      - .offset:         0
        .size:           48
        .value_kind:     by_value
      - .offset:         48
        .size:           48
        .value_kind:     by_value
      - .offset:         96
        .size:           48
        .value_kind:     by_value
      - .address_space:  global
        .offset:         144
        .size:           8
        .value_kind:     global_buffer
      - .offset:         152
        .size:           4
        .value_kind:     by_value
      - .offset:         156
        .size:           4
        .value_kind:     by_value
      - .offset:         160
        .size:           4
        .value_kind:     by_value
      - .offset:         164
        .size:           4
        .value_kind:     by_value
      - .offset:         168
        .size:           4
        .value_kind:     by_value
      - .offset:         172
        .size:           4
        .value_kind:     by_value
      - .offset:         176
        .size:           4
        .value_kind:     by_value
      - .offset:         180
        .size:           4
        .value_kind:     by_value
      - .offset:         184
        .size:           4
        .value_kind:     by_value
      - .offset:         192
        .size:           4
        .value_kind:     hidden_block_count_x
      - .offset:         196
        .size:           4
        .value_kind:     hidden_block_count_y
      - .offset:         200
        .size:           4
        .value_kind:     hidden_block_count_z
      - .offset:         204
        .size:           2
        .value_kind:     hidden_group_size_x
      - .offset:         206
        .size:           2
        .value_kind:     hidden_group_size_y
      - .offset:         208
        .size:           2
        .value_kind:     hidden_group_size_z
      - .offset:         210
        .size:           2
        .value_kind:     hidden_remainder_x
      - .offset:         212
        .size:           2
        .value_kind:     hidden_remainder_y
      - .offset:         214
        .size:           2
        .value_kind:     hidden_remainder_z
      - .offset:         232
        .size:           8
        .value_kind:     hidden_global_offset_x
      - .offset:         240
        .size:           8
        .value_kind:     hidden_global_offset_y
      - .offset:         248
        .size:           8
        .value_kind:     hidden_global_offset_z
      - .offset:         256
        .size:           2
        .value_kind:     hidden_grid_dims
    .group_segment_fixed_size: 0
    .kernarg_segment_align: 8
    .kernarg_segment_size: 448
    .language:       OpenCL C
    .language_version:
      - 2
      - 0
    .max_flat_workgroup_size: 1024
    .name:           _ZN2at6native12_GLOBAL__N_128conv_depthwise3d_cuda_kernelIddLin1ELin1ELin1ELi1ELi1ELi1EEEvN5torch10headeronly6detail27GenericPackedTensorAccessorINS5_14TensorAccessorIN3c108ArrayRefIlEEKT_Lm4ENS4_16DefaultPtrTraitsEiEENS_6detail16IndexBoundsCheckILm5EiEESC_Lm5ESD_iEENS6_INS7_ISA_SB_Lm4ESD_iEESH_SB_Lm5ESD_iEESI_PSC_iiiiiiiii
    .private_segment_fixed_size: 0
    .sgpr_count:     80
    .sgpr_spill_count: 0
    .symbol:         _ZN2at6native12_GLOBAL__N_128conv_depthwise3d_cuda_kernelIddLin1ELin1ELin1ELi1ELi1ELi1EEEvN5torch10headeronly6detail27GenericPackedTensorAccessorINS5_14TensorAccessorIN3c108ArrayRefIlEEKT_Lm4ENS4_16DefaultPtrTraitsEiEENS_6detail16IndexBoundsCheckILm5EiEESC_Lm5ESD_iEENS6_INS7_ISA_SB_Lm4ESD_iEESH_SB_Lm5ESD_iEESI_PSC_iiiiiiiii.kd
    .uniform_work_group_size: 1
    .uses_dynamic_stack: false
    .vgpr_count:     27
    .vgpr_spill_count: 0
    .wavefront_size: 64
  - .args:
      - .offset:         0
        .size:           48
        .value_kind:     by_value
      - .offset:         48
        .size:           48
        .value_kind:     by_value
      - .offset:         96
        .size:           48
        .value_kind:     by_value
      - .address_space:  global
        .offset:         144
        .size:           8
        .value_kind:     global_buffer
      - .offset:         152
        .size:           4
        .value_kind:     by_value
      - .offset:         156
        .size:           4
        .value_kind:     by_value
      - .offset:         160
        .size:           4
        .value_kind:     by_value
      - .offset:         164
        .size:           4
        .value_kind:     by_value
      - .offset:         168
        .size:           4
        .value_kind:     by_value
      - .offset:         172
        .size:           4
        .value_kind:     by_value
      - .offset:         176
        .size:           4
        .value_kind:     by_value
      - .offset:         180
        .size:           4
        .value_kind:     by_value
      - .offset:         184
        .size:           4
        .value_kind:     by_value
      - .offset:         192
        .size:           4
        .value_kind:     hidden_block_count_x
      - .offset:         196
        .size:           4
        .value_kind:     hidden_block_count_y
      - .offset:         200
        .size:           4
        .value_kind:     hidden_block_count_z
      - .offset:         204
        .size:           2
        .value_kind:     hidden_group_size_x
      - .offset:         206
        .size:           2
        .value_kind:     hidden_group_size_y
      - .offset:         208
        .size:           2
        .value_kind:     hidden_group_size_z
      - .offset:         210
        .size:           2
        .value_kind:     hidden_remainder_x
      - .offset:         212
        .size:           2
        .value_kind:     hidden_remainder_y
      - .offset:         214
        .size:           2
        .value_kind:     hidden_remainder_z
      - .offset:         232
        .size:           8
        .value_kind:     hidden_global_offset_x
      - .offset:         240
        .size:           8
        .value_kind:     hidden_global_offset_y
      - .offset:         248
        .size:           8
        .value_kind:     hidden_global_offset_z
      - .offset:         256
        .size:           2
        .value_kind:     hidden_grid_dims
    .group_segment_fixed_size: 0
    .kernarg_segment_align: 8
    .kernarg_segment_size: 448
    .language:       OpenCL C
    .language_version:
      - 2
      - 0
    .max_flat_workgroup_size: 1024
    .name:           _ZN2at6native12_GLOBAL__N_128conv_depthwise3d_cuda_kernelIddLin1ELin1ELin1ELin1ELin1ELin1EEEvN5torch10headeronly6detail27GenericPackedTensorAccessorINS5_14TensorAccessorIN3c108ArrayRefIlEEKT_Lm4ENS4_16DefaultPtrTraitsEiEENS_6detail16IndexBoundsCheckILm5EiEESC_Lm5ESD_iEENS6_INS7_ISA_SB_Lm4ESD_iEESH_SB_Lm5ESD_iEESI_PSC_iiiiiiiii
    .private_segment_fixed_size: 0
    .sgpr_count:     86
    .sgpr_spill_count: 0
    .symbol:         _ZN2at6native12_GLOBAL__N_128conv_depthwise3d_cuda_kernelIddLin1ELin1ELin1ELin1ELin1ELin1EEEvN5torch10headeronly6detail27GenericPackedTensorAccessorINS5_14TensorAccessorIN3c108ArrayRefIlEEKT_Lm4ENS4_16DefaultPtrTraitsEiEENS_6detail16IndexBoundsCheckILm5EiEESC_Lm5ESD_iEENS6_INS7_ISA_SB_Lm4ESD_iEESH_SB_Lm5ESD_iEESI_PSC_iiiiiiiii.kd
    .uniform_work_group_size: 1
    .uses_dynamic_stack: false
    .vgpr_count:     27
    .vgpr_spill_count: 0
    .wavefront_size: 64
  - .args:
      - .offset:         0
        .size:           48
        .value_kind:     by_value
      - .offset:         48
        .size:           48
        .value_kind:     by_value
      - .offset:         96
        .size:           48
        .value_kind:     by_value
      - .address_space:  global
        .offset:         144
        .size:           8
        .value_kind:     global_buffer
      - .offset:         152
        .size:           4
        .value_kind:     by_value
      - .offset:         156
        .size:           4
        .value_kind:     by_value
      - .offset:         160
        .size:           4
        .value_kind:     by_value
      - .offset:         164
        .size:           4
        .value_kind:     by_value
      - .offset:         168
        .size:           4
        .value_kind:     by_value
      - .offset:         172
        .size:           4
        .value_kind:     by_value
      - .offset:         176
        .size:           4
        .value_kind:     by_value
      - .offset:         180
        .size:           4
        .value_kind:     by_value
      - .offset:         184
        .size:           4
        .value_kind:     by_value
      - .offset:         192
        .size:           4
        .value_kind:     hidden_block_count_x
      - .offset:         196
        .size:           4
        .value_kind:     hidden_block_count_y
      - .offset:         200
        .size:           4
        .value_kind:     hidden_block_count_z
      - .offset:         204
        .size:           2
        .value_kind:     hidden_group_size_x
      - .offset:         206
        .size:           2
        .value_kind:     hidden_group_size_y
      - .offset:         208
        .size:           2
        .value_kind:     hidden_group_size_z
      - .offset:         210
        .size:           2
        .value_kind:     hidden_remainder_x
      - .offset:         212
        .size:           2
        .value_kind:     hidden_remainder_y
      - .offset:         214
        .size:           2
        .value_kind:     hidden_remainder_z
      - .offset:         232
        .size:           8
        .value_kind:     hidden_global_offset_x
      - .offset:         240
        .size:           8
        .value_kind:     hidden_global_offset_y
      - .offset:         248
        .size:           8
        .value_kind:     hidden_global_offset_z
      - .offset:         256
        .size:           2
        .value_kind:     hidden_grid_dims
    .group_segment_fixed_size: 0
    .kernarg_segment_align: 8
    .kernarg_segment_size: 448
    .language:       OpenCL C
    .language_version:
      - 2
      - 0
    .max_flat_workgroup_size: 1024
    .name:           _ZN2at6native12_GLOBAL__N_128conv_depthwise3d_cuda_kernelIffLi3ELi3ELi3ELi1ELi1ELi1EEEvN5torch10headeronly6detail27GenericPackedTensorAccessorINS5_14TensorAccessorIN3c108ArrayRefIlEEKT_Lm4ENS4_16DefaultPtrTraitsEiEENS_6detail16IndexBoundsCheckILm5EiEESC_Lm5ESD_iEENS6_INS7_ISA_SB_Lm4ESD_iEESH_SB_Lm5ESD_iEESI_PSC_iiiiiiiii
    .private_segment_fixed_size: 0
    .sgpr_count:     92
    .sgpr_spill_count: 0
    .symbol:         _ZN2at6native12_GLOBAL__N_128conv_depthwise3d_cuda_kernelIffLi3ELi3ELi3ELi1ELi1ELi1EEEvN5torch10headeronly6detail27GenericPackedTensorAccessorINS5_14TensorAccessorIN3c108ArrayRefIlEEKT_Lm4ENS4_16DefaultPtrTraitsEiEENS_6detail16IndexBoundsCheckILm5EiEESC_Lm5ESD_iEENS6_INS7_ISA_SB_Lm4ESD_iEESH_SB_Lm5ESD_iEESI_PSC_iiiiiiiii.kd
    .uniform_work_group_size: 1
    .uses_dynamic_stack: false
    .vgpr_count:     25
    .vgpr_spill_count: 0
    .wavefront_size: 64
  - .args:
      - .offset:         0
        .size:           48
        .value_kind:     by_value
      - .offset:         48
        .size:           48
        .value_kind:     by_value
      - .offset:         96
        .size:           48
        .value_kind:     by_value
      - .address_space:  global
        .offset:         144
        .size:           8
        .value_kind:     global_buffer
      - .offset:         152
        .size:           4
        .value_kind:     by_value
      - .offset:         156
        .size:           4
        .value_kind:     by_value
      - .offset:         160
        .size:           4
        .value_kind:     by_value
      - .offset:         164
        .size:           4
        .value_kind:     by_value
      - .offset:         168
        .size:           4
        .value_kind:     by_value
      - .offset:         172
        .size:           4
        .value_kind:     by_value
      - .offset:         176
        .size:           4
        .value_kind:     by_value
      - .offset:         180
        .size:           4
        .value_kind:     by_value
      - .offset:         184
        .size:           4
        .value_kind:     by_value
      - .offset:         192
        .size:           4
        .value_kind:     hidden_block_count_x
      - .offset:         196
        .size:           4
        .value_kind:     hidden_block_count_y
      - .offset:         200
        .size:           4
        .value_kind:     hidden_block_count_z
      - .offset:         204
        .size:           2
        .value_kind:     hidden_group_size_x
      - .offset:         206
        .size:           2
        .value_kind:     hidden_group_size_y
      - .offset:         208
        .size:           2
        .value_kind:     hidden_group_size_z
      - .offset:         210
        .size:           2
        .value_kind:     hidden_remainder_x
      - .offset:         212
        .size:           2
        .value_kind:     hidden_remainder_y
      - .offset:         214
        .size:           2
        .value_kind:     hidden_remainder_z
      - .offset:         232
        .size:           8
        .value_kind:     hidden_global_offset_x
      - .offset:         240
        .size:           8
        .value_kind:     hidden_global_offset_y
      - .offset:         248
        .size:           8
        .value_kind:     hidden_global_offset_z
      - .offset:         256
        .size:           2
        .value_kind:     hidden_grid_dims
    .group_segment_fixed_size: 0
    .kernarg_segment_align: 8
    .kernarg_segment_size: 448
    .language:       OpenCL C
    .language_version:
      - 2
      - 0
    .max_flat_workgroup_size: 1024
    .name:           _ZN2at6native12_GLOBAL__N_128conv_depthwise3d_cuda_kernelIffLin1ELin1ELin1ELi1ELi1ELi1EEEvN5torch10headeronly6detail27GenericPackedTensorAccessorINS5_14TensorAccessorIN3c108ArrayRefIlEEKT_Lm4ENS4_16DefaultPtrTraitsEiEENS_6detail16IndexBoundsCheckILm5EiEESC_Lm5ESD_iEENS6_INS7_ISA_SB_Lm4ESD_iEESH_SB_Lm5ESD_iEESI_PSC_iiiiiiiii
    .private_segment_fixed_size: 0
    .sgpr_count:     80
    .sgpr_spill_count: 0
    .symbol:         _ZN2at6native12_GLOBAL__N_128conv_depthwise3d_cuda_kernelIffLin1ELin1ELin1ELi1ELi1ELi1EEEvN5torch10headeronly6detail27GenericPackedTensorAccessorINS5_14TensorAccessorIN3c108ArrayRefIlEEKT_Lm4ENS4_16DefaultPtrTraitsEiEENS_6detail16IndexBoundsCheckILm5EiEESC_Lm5ESD_iEENS6_INS7_ISA_SB_Lm4ESD_iEESH_SB_Lm5ESD_iEESI_PSC_iiiiiiiii.kd
    .uniform_work_group_size: 1
    .uses_dynamic_stack: false
    .vgpr_count:     24
    .vgpr_spill_count: 0
    .wavefront_size: 64
  - .args:
      - .offset:         0
        .size:           48
        .value_kind:     by_value
      - .offset:         48
        .size:           48
        .value_kind:     by_value
      - .offset:         96
        .size:           48
        .value_kind:     by_value
      - .address_space:  global
        .offset:         144
        .size:           8
        .value_kind:     global_buffer
      - .offset:         152
        .size:           4
        .value_kind:     by_value
      - .offset:         156
        .size:           4
        .value_kind:     by_value
      - .offset:         160
        .size:           4
        .value_kind:     by_value
      - .offset:         164
        .size:           4
        .value_kind:     by_value
      - .offset:         168
        .size:           4
        .value_kind:     by_value
      - .offset:         172
        .size:           4
        .value_kind:     by_value
      - .offset:         176
        .size:           4
        .value_kind:     by_value
      - .offset:         180
        .size:           4
        .value_kind:     by_value
      - .offset:         184
        .size:           4
        .value_kind:     by_value
      - .offset:         192
        .size:           4
        .value_kind:     hidden_block_count_x
      - .offset:         196
        .size:           4
        .value_kind:     hidden_block_count_y
      - .offset:         200
        .size:           4
        .value_kind:     hidden_block_count_z
      - .offset:         204
        .size:           2
        .value_kind:     hidden_group_size_x
      - .offset:         206
        .size:           2
        .value_kind:     hidden_group_size_y
      - .offset:         208
        .size:           2
        .value_kind:     hidden_group_size_z
      - .offset:         210
        .size:           2
        .value_kind:     hidden_remainder_x
      - .offset:         212
        .size:           2
        .value_kind:     hidden_remainder_y
      - .offset:         214
        .size:           2
        .value_kind:     hidden_remainder_z
      - .offset:         232
        .size:           8
        .value_kind:     hidden_global_offset_x
      - .offset:         240
        .size:           8
        .value_kind:     hidden_global_offset_y
      - .offset:         248
        .size:           8
        .value_kind:     hidden_global_offset_z
      - .offset:         256
        .size:           2
        .value_kind:     hidden_grid_dims
    .group_segment_fixed_size: 0
    .kernarg_segment_align: 8
    .kernarg_segment_size: 448
    .language:       OpenCL C
    .language_version:
      - 2
      - 0
    .max_flat_workgroup_size: 1024
    .name:           _ZN2at6native12_GLOBAL__N_128conv_depthwise3d_cuda_kernelIffLin1ELin1ELin1ELin1ELin1ELin1EEEvN5torch10headeronly6detail27GenericPackedTensorAccessorINS5_14TensorAccessorIN3c108ArrayRefIlEEKT_Lm4ENS4_16DefaultPtrTraitsEiEENS_6detail16IndexBoundsCheckILm5EiEESC_Lm5ESD_iEENS6_INS7_ISA_SB_Lm4ESD_iEESH_SB_Lm5ESD_iEESI_PSC_iiiiiiiii
    .private_segment_fixed_size: 0
    .sgpr_count:     86
    .sgpr_spill_count: 0
    .symbol:         _ZN2at6native12_GLOBAL__N_128conv_depthwise3d_cuda_kernelIffLin1ELin1ELin1ELin1ELin1ELin1EEEvN5torch10headeronly6detail27GenericPackedTensorAccessorINS5_14TensorAccessorIN3c108ArrayRefIlEEKT_Lm4ENS4_16DefaultPtrTraitsEiEENS_6detail16IndexBoundsCheckILm5EiEESC_Lm5ESD_iEENS6_INS7_ISA_SB_Lm4ESD_iEESH_SB_Lm5ESD_iEESI_PSC_iiiiiiiii.kd
    .uniform_work_group_size: 1
    .uses_dynamic_stack: false
    .vgpr_count:     24
    .vgpr_spill_count: 0
    .wavefront_size: 64
  - .args:
      - .offset:         0
        .size:           48
        .value_kind:     by_value
      - .offset:         48
        .size:           48
        .value_kind:     by_value
      - .offset:         96
        .size:           48
        .value_kind:     by_value
      - .address_space:  global
        .offset:         144
        .size:           8
        .value_kind:     global_buffer
      - .offset:         152
        .size:           4
        .value_kind:     by_value
      - .offset:         156
        .size:           4
        .value_kind:     by_value
      - .offset:         160
        .size:           4
        .value_kind:     by_value
      - .offset:         164
        .size:           4
        .value_kind:     by_value
      - .offset:         168
        .size:           4
        .value_kind:     by_value
      - .offset:         172
        .size:           4
        .value_kind:     by_value
      - .offset:         176
        .size:           4
        .value_kind:     by_value
      - .offset:         180
        .size:           4
        .value_kind:     by_value
      - .offset:         184
        .size:           4
        .value_kind:     by_value
      - .offset:         192
        .size:           4
        .value_kind:     hidden_block_count_x
      - .offset:         196
        .size:           4
        .value_kind:     hidden_block_count_y
      - .offset:         200
        .size:           4
        .value_kind:     hidden_block_count_z
      - .offset:         204
        .size:           2
        .value_kind:     hidden_group_size_x
      - .offset:         206
        .size:           2
        .value_kind:     hidden_group_size_y
      - .offset:         208
        .size:           2
        .value_kind:     hidden_group_size_z
      - .offset:         210
        .size:           2
        .value_kind:     hidden_remainder_x
      - .offset:         212
        .size:           2
        .value_kind:     hidden_remainder_y
      - .offset:         214
        .size:           2
        .value_kind:     hidden_remainder_z
      - .offset:         232
        .size:           8
        .value_kind:     hidden_global_offset_x
      - .offset:         240
        .size:           8
        .value_kind:     hidden_global_offset_y
      - .offset:         248
        .size:           8
        .value_kind:     hidden_global_offset_z
      - .offset:         256
        .size:           2
        .value_kind:     hidden_grid_dims
    .group_segment_fixed_size: 0
    .kernarg_segment_align: 8
    .kernarg_segment_size: 448
    .language:       OpenCL C
    .language_version:
      - 2
      - 0
    .max_flat_workgroup_size: 1024
    .name:           _ZN2at6native12_GLOBAL__N_128conv_depthwise3d_cuda_kernelIN3c104HalfEfLi3ELi3ELi3ELi1ELi1ELi1EEEvN5torch10headeronly6detail27GenericPackedTensorAccessorINS7_14TensorAccessorINS3_8ArrayRefIlEEKT_Lm4ENS6_16DefaultPtrTraitsEiEENS_6detail16IndexBoundsCheckILm5EiEESD_Lm5ESE_iEENS8_INS9_ISB_SC_Lm4ESE_iEESI_SC_Lm5ESE_iEESJ_PSD_iiiiiiiii
    .private_segment_fixed_size: 0
    .sgpr_count:     92
    .sgpr_spill_count: 0
    .symbol:         _ZN2at6native12_GLOBAL__N_128conv_depthwise3d_cuda_kernelIN3c104HalfEfLi3ELi3ELi3ELi1ELi1ELi1EEEvN5torch10headeronly6detail27GenericPackedTensorAccessorINS7_14TensorAccessorINS3_8ArrayRefIlEEKT_Lm4ENS6_16DefaultPtrTraitsEiEENS_6detail16IndexBoundsCheckILm5EiEESD_Lm5ESE_iEENS8_INS9_ISB_SC_Lm4ESE_iEESI_SC_Lm5ESE_iEESJ_PSD_iiiiiiiii.kd
    .uniform_work_group_size: 1
    .uses_dynamic_stack: false
    .vgpr_count:     25
    .vgpr_spill_count: 0
    .wavefront_size: 64
  - .args:
      - .offset:         0
        .size:           48
        .value_kind:     by_value
      - .offset:         48
        .size:           48
        .value_kind:     by_value
      - .offset:         96
        .size:           48
        .value_kind:     by_value
      - .address_space:  global
        .offset:         144
        .size:           8
        .value_kind:     global_buffer
      - .offset:         152
        .size:           4
        .value_kind:     by_value
      - .offset:         156
        .size:           4
        .value_kind:     by_value
      - .offset:         160
        .size:           4
        .value_kind:     by_value
      - .offset:         164
        .size:           4
        .value_kind:     by_value
      - .offset:         168
        .size:           4
        .value_kind:     by_value
      - .offset:         172
        .size:           4
        .value_kind:     by_value
      - .offset:         176
        .size:           4
        .value_kind:     by_value
      - .offset:         180
        .size:           4
        .value_kind:     by_value
      - .offset:         184
        .size:           4
        .value_kind:     by_value
      - .offset:         192
        .size:           4
        .value_kind:     hidden_block_count_x
      - .offset:         196
        .size:           4
        .value_kind:     hidden_block_count_y
      - .offset:         200
        .size:           4
        .value_kind:     hidden_block_count_z
      - .offset:         204
        .size:           2
        .value_kind:     hidden_group_size_x
      - .offset:         206
        .size:           2
        .value_kind:     hidden_group_size_y
      - .offset:         208
        .size:           2
        .value_kind:     hidden_group_size_z
      - .offset:         210
        .size:           2
        .value_kind:     hidden_remainder_x
      - .offset:         212
        .size:           2
        .value_kind:     hidden_remainder_y
      - .offset:         214
        .size:           2
        .value_kind:     hidden_remainder_z
      - .offset:         232
        .size:           8
        .value_kind:     hidden_global_offset_x
      - .offset:         240
        .size:           8
        .value_kind:     hidden_global_offset_y
      - .offset:         248
        .size:           8
        .value_kind:     hidden_global_offset_z
      - .offset:         256
        .size:           2
        .value_kind:     hidden_grid_dims
    .group_segment_fixed_size: 0
    .kernarg_segment_align: 8
    .kernarg_segment_size: 448
    .language:       OpenCL C
    .language_version:
      - 2
      - 0
    .max_flat_workgroup_size: 1024
    .name:           _ZN2at6native12_GLOBAL__N_128conv_depthwise3d_cuda_kernelIN3c104HalfEfLin1ELin1ELin1ELi1ELi1ELi1EEEvN5torch10headeronly6detail27GenericPackedTensorAccessorINS7_14TensorAccessorINS3_8ArrayRefIlEEKT_Lm4ENS6_16DefaultPtrTraitsEiEENS_6detail16IndexBoundsCheckILm5EiEESD_Lm5ESE_iEENS8_INS9_ISB_SC_Lm4ESE_iEESI_SC_Lm5ESE_iEESJ_PSD_iiiiiiiii
    .private_segment_fixed_size: 0
    .sgpr_count:     80
    .sgpr_spill_count: 0
    .symbol:         _ZN2at6native12_GLOBAL__N_128conv_depthwise3d_cuda_kernelIN3c104HalfEfLin1ELin1ELin1ELi1ELi1ELi1EEEvN5torch10headeronly6detail27GenericPackedTensorAccessorINS7_14TensorAccessorINS3_8ArrayRefIlEEKT_Lm4ENS6_16DefaultPtrTraitsEiEENS_6detail16IndexBoundsCheckILm5EiEESD_Lm5ESE_iEENS8_INS9_ISB_SC_Lm4ESE_iEESI_SC_Lm5ESE_iEESJ_PSD_iiiiiiiii.kd
    .uniform_work_group_size: 1
    .uses_dynamic_stack: false
    .vgpr_count:     24
    .vgpr_spill_count: 0
    .wavefront_size: 64
  - .args:
      - .offset:         0
        .size:           48
        .value_kind:     by_value
      - .offset:         48
        .size:           48
        .value_kind:     by_value
      - .offset:         96
        .size:           48
        .value_kind:     by_value
      - .address_space:  global
        .offset:         144
        .size:           8
        .value_kind:     global_buffer
      - .offset:         152
        .size:           4
        .value_kind:     by_value
      - .offset:         156
        .size:           4
        .value_kind:     by_value
      - .offset:         160
        .size:           4
        .value_kind:     by_value
      - .offset:         164
        .size:           4
        .value_kind:     by_value
      - .offset:         168
        .size:           4
        .value_kind:     by_value
      - .offset:         172
        .size:           4
        .value_kind:     by_value
      - .offset:         176
        .size:           4
        .value_kind:     by_value
      - .offset:         180
        .size:           4
        .value_kind:     by_value
      - .offset:         184
        .size:           4
        .value_kind:     by_value
      - .offset:         192
        .size:           4
        .value_kind:     hidden_block_count_x
      - .offset:         196
        .size:           4
        .value_kind:     hidden_block_count_y
      - .offset:         200
        .size:           4
        .value_kind:     hidden_block_count_z
      - .offset:         204
        .size:           2
        .value_kind:     hidden_group_size_x
      - .offset:         206
        .size:           2
        .value_kind:     hidden_group_size_y
      - .offset:         208
        .size:           2
        .value_kind:     hidden_group_size_z
      - .offset:         210
        .size:           2
        .value_kind:     hidden_remainder_x
      - .offset:         212
        .size:           2
        .value_kind:     hidden_remainder_y
      - .offset:         214
        .size:           2
        .value_kind:     hidden_remainder_z
      - .offset:         232
        .size:           8
        .value_kind:     hidden_global_offset_x
      - .offset:         240
        .size:           8
        .value_kind:     hidden_global_offset_y
      - .offset:         248
        .size:           8
        .value_kind:     hidden_global_offset_z
      - .offset:         256
        .size:           2
        .value_kind:     hidden_grid_dims
    .group_segment_fixed_size: 0
    .kernarg_segment_align: 8
    .kernarg_segment_size: 448
    .language:       OpenCL C
    .language_version:
      - 2
      - 0
    .max_flat_workgroup_size: 1024
    .name:           _ZN2at6native12_GLOBAL__N_128conv_depthwise3d_cuda_kernelIN3c104HalfEfLin1ELin1ELin1ELin1ELin1ELin1EEEvN5torch10headeronly6detail27GenericPackedTensorAccessorINS7_14TensorAccessorINS3_8ArrayRefIlEEKT_Lm4ENS6_16DefaultPtrTraitsEiEENS_6detail16IndexBoundsCheckILm5EiEESD_Lm5ESE_iEENS8_INS9_ISB_SC_Lm4ESE_iEESI_SC_Lm5ESE_iEESJ_PSD_iiiiiiiii
    .private_segment_fixed_size: 0
    .sgpr_count:     86
    .sgpr_spill_count: 0
    .symbol:         _ZN2at6native12_GLOBAL__N_128conv_depthwise3d_cuda_kernelIN3c104HalfEfLin1ELin1ELin1ELin1ELin1ELin1EEEvN5torch10headeronly6detail27GenericPackedTensorAccessorINS7_14TensorAccessorINS3_8ArrayRefIlEEKT_Lm4ENS6_16DefaultPtrTraitsEiEENS_6detail16IndexBoundsCheckILm5EiEESD_Lm5ESE_iEENS8_INS9_ISB_SC_Lm4ESE_iEESI_SC_Lm5ESE_iEESJ_PSD_iiiiiiiii.kd
    .uniform_work_group_size: 1
    .uses_dynamic_stack: false
    .vgpr_count:     24
    .vgpr_spill_count: 0
    .wavefront_size: 64
  - .args:
      - .offset:         0
        .size:           48
        .value_kind:     by_value
      - .offset:         48
        .size:           48
        .value_kind:     by_value
      - .offset:         96
        .size:           48
        .value_kind:     by_value
      - .address_space:  global
        .offset:         144
        .size:           8
        .value_kind:     global_buffer
      - .offset:         152
        .size:           4
        .value_kind:     by_value
      - .offset:         156
        .size:           4
        .value_kind:     by_value
      - .offset:         160
        .size:           4
        .value_kind:     by_value
      - .offset:         164
        .size:           4
        .value_kind:     by_value
      - .offset:         168
        .size:           4
        .value_kind:     by_value
      - .offset:         172
        .size:           4
        .value_kind:     by_value
      - .offset:         176
        .size:           4
        .value_kind:     by_value
      - .offset:         180
        .size:           4
        .value_kind:     by_value
      - .offset:         184
        .size:           4
        .value_kind:     by_value
      - .offset:         192
        .size:           4
        .value_kind:     hidden_block_count_x
      - .offset:         196
        .size:           4
        .value_kind:     hidden_block_count_y
      - .offset:         200
        .size:           4
        .value_kind:     hidden_block_count_z
      - .offset:         204
        .size:           2
        .value_kind:     hidden_group_size_x
      - .offset:         206
        .size:           2
        .value_kind:     hidden_group_size_y
      - .offset:         208
        .size:           2
        .value_kind:     hidden_group_size_z
      - .offset:         210
        .size:           2
        .value_kind:     hidden_remainder_x
      - .offset:         212
        .size:           2
        .value_kind:     hidden_remainder_y
      - .offset:         214
        .size:           2
        .value_kind:     hidden_remainder_z
      - .offset:         232
        .size:           8
        .value_kind:     hidden_global_offset_x
      - .offset:         240
        .size:           8
        .value_kind:     hidden_global_offset_y
      - .offset:         248
        .size:           8
        .value_kind:     hidden_global_offset_z
      - .offset:         256
        .size:           2
        .value_kind:     hidden_grid_dims
    .group_segment_fixed_size: 0
    .kernarg_segment_align: 8
    .kernarg_segment_size: 448
    .language:       OpenCL C
    .language_version:
      - 2
      - 0
    .max_flat_workgroup_size: 1024
    .name:           _ZN2at6native12_GLOBAL__N_128conv_depthwise3d_cuda_kernelIN3c108BFloat16EfLi3ELi3ELi3ELi1ELi1ELi1EEEvN5torch10headeronly6detail27GenericPackedTensorAccessorINS7_14TensorAccessorINS3_8ArrayRefIlEEKT_Lm4ENS6_16DefaultPtrTraitsEiEENS_6detail16IndexBoundsCheckILm5EiEESD_Lm5ESE_iEENS8_INS9_ISB_SC_Lm4ESE_iEESI_SC_Lm5ESE_iEESJ_PSD_iiiiiiiii
    .private_segment_fixed_size: 0
    .sgpr_count:     92
    .sgpr_spill_count: 0
    .symbol:         _ZN2at6native12_GLOBAL__N_128conv_depthwise3d_cuda_kernelIN3c108BFloat16EfLi3ELi3ELi3ELi1ELi1ELi1EEEvN5torch10headeronly6detail27GenericPackedTensorAccessorINS7_14TensorAccessorINS3_8ArrayRefIlEEKT_Lm4ENS6_16DefaultPtrTraitsEiEENS_6detail16IndexBoundsCheckILm5EiEESD_Lm5ESE_iEENS8_INS9_ISB_SC_Lm4ESE_iEESI_SC_Lm5ESE_iEESJ_PSD_iiiiiiiii.kd
    .uniform_work_group_size: 1
    .uses_dynamic_stack: false
    .vgpr_count:     26
    .vgpr_spill_count: 0
    .wavefront_size: 64
  - .args:
      - .offset:         0
        .size:           48
        .value_kind:     by_value
      - .offset:         48
        .size:           48
        .value_kind:     by_value
      - .offset:         96
        .size:           48
        .value_kind:     by_value
      - .address_space:  global
        .offset:         144
        .size:           8
        .value_kind:     global_buffer
      - .offset:         152
        .size:           4
        .value_kind:     by_value
      - .offset:         156
        .size:           4
        .value_kind:     by_value
      - .offset:         160
        .size:           4
        .value_kind:     by_value
      - .offset:         164
        .size:           4
        .value_kind:     by_value
      - .offset:         168
        .size:           4
        .value_kind:     by_value
      - .offset:         172
        .size:           4
        .value_kind:     by_value
      - .offset:         176
        .size:           4
        .value_kind:     by_value
      - .offset:         180
        .size:           4
        .value_kind:     by_value
      - .offset:         184
        .size:           4
        .value_kind:     by_value
      - .offset:         192
        .size:           4
        .value_kind:     hidden_block_count_x
      - .offset:         196
        .size:           4
        .value_kind:     hidden_block_count_y
      - .offset:         200
        .size:           4
        .value_kind:     hidden_block_count_z
      - .offset:         204
        .size:           2
        .value_kind:     hidden_group_size_x
      - .offset:         206
        .size:           2
        .value_kind:     hidden_group_size_y
      - .offset:         208
        .size:           2
        .value_kind:     hidden_group_size_z
      - .offset:         210
        .size:           2
        .value_kind:     hidden_remainder_x
      - .offset:         212
        .size:           2
        .value_kind:     hidden_remainder_y
      - .offset:         214
        .size:           2
        .value_kind:     hidden_remainder_z
      - .offset:         232
        .size:           8
        .value_kind:     hidden_global_offset_x
      - .offset:         240
        .size:           8
        .value_kind:     hidden_global_offset_y
      - .offset:         248
        .size:           8
        .value_kind:     hidden_global_offset_z
      - .offset:         256
        .size:           2
        .value_kind:     hidden_grid_dims
    .group_segment_fixed_size: 0
    .kernarg_segment_align: 8
    .kernarg_segment_size: 448
    .language:       OpenCL C
    .language_version:
      - 2
      - 0
    .max_flat_workgroup_size: 1024
    .name:           _ZN2at6native12_GLOBAL__N_128conv_depthwise3d_cuda_kernelIN3c108BFloat16EfLin1ELin1ELin1ELi1ELi1ELi1EEEvN5torch10headeronly6detail27GenericPackedTensorAccessorINS7_14TensorAccessorINS3_8ArrayRefIlEEKT_Lm4ENS6_16DefaultPtrTraitsEiEENS_6detail16IndexBoundsCheckILm5EiEESD_Lm5ESE_iEENS8_INS9_ISB_SC_Lm4ESE_iEESI_SC_Lm5ESE_iEESJ_PSD_iiiiiiiii
    .private_segment_fixed_size: 0
    .sgpr_count:     82
    .sgpr_spill_count: 0
    .symbol:         _ZN2at6native12_GLOBAL__N_128conv_depthwise3d_cuda_kernelIN3c108BFloat16EfLin1ELin1ELin1ELi1ELi1ELi1EEEvN5torch10headeronly6detail27GenericPackedTensorAccessorINS7_14TensorAccessorINS3_8ArrayRefIlEEKT_Lm4ENS6_16DefaultPtrTraitsEiEENS_6detail16IndexBoundsCheckILm5EiEESD_Lm5ESE_iEENS8_INS9_ISB_SC_Lm4ESE_iEESI_SC_Lm5ESE_iEESJ_PSD_iiiiiiiii.kd
    .uniform_work_group_size: 1
    .uses_dynamic_stack: false
    .vgpr_count:     25
    .vgpr_spill_count: 0
    .wavefront_size: 64
  - .args:
      - .offset:         0
        .size:           48
        .value_kind:     by_value
      - .offset:         48
        .size:           48
        .value_kind:     by_value
      - .offset:         96
        .size:           48
        .value_kind:     by_value
      - .address_space:  global
        .offset:         144
        .size:           8
        .value_kind:     global_buffer
      - .offset:         152
        .size:           4
        .value_kind:     by_value
      - .offset:         156
        .size:           4
        .value_kind:     by_value
      - .offset:         160
        .size:           4
        .value_kind:     by_value
      - .offset:         164
        .size:           4
        .value_kind:     by_value
      - .offset:         168
        .size:           4
        .value_kind:     by_value
      - .offset:         172
        .size:           4
        .value_kind:     by_value
      - .offset:         176
        .size:           4
        .value_kind:     by_value
      - .offset:         180
        .size:           4
        .value_kind:     by_value
      - .offset:         184
        .size:           4
        .value_kind:     by_value
      - .offset:         192
        .size:           4
        .value_kind:     hidden_block_count_x
      - .offset:         196
        .size:           4
        .value_kind:     hidden_block_count_y
      - .offset:         200
        .size:           4
        .value_kind:     hidden_block_count_z
      - .offset:         204
        .size:           2
        .value_kind:     hidden_group_size_x
      - .offset:         206
        .size:           2
        .value_kind:     hidden_group_size_y
      - .offset:         208
        .size:           2
        .value_kind:     hidden_group_size_z
      - .offset:         210
        .size:           2
        .value_kind:     hidden_remainder_x
      - .offset:         212
        .size:           2
        .value_kind:     hidden_remainder_y
      - .offset:         214
        .size:           2
        .value_kind:     hidden_remainder_z
      - .offset:         232
        .size:           8
        .value_kind:     hidden_global_offset_x
      - .offset:         240
        .size:           8
        .value_kind:     hidden_global_offset_y
      - .offset:         248
        .size:           8
        .value_kind:     hidden_global_offset_z
      - .offset:         256
        .size:           2
        .value_kind:     hidden_grid_dims
    .group_segment_fixed_size: 0
    .kernarg_segment_align: 8
    .kernarg_segment_size: 448
    .language:       OpenCL C
    .language_version:
      - 2
      - 0
    .max_flat_workgroup_size: 1024
    .name:           _ZN2at6native12_GLOBAL__N_128conv_depthwise3d_cuda_kernelIN3c108BFloat16EfLin1ELin1ELin1ELin1ELin1ELin1EEEvN5torch10headeronly6detail27GenericPackedTensorAccessorINS7_14TensorAccessorINS3_8ArrayRefIlEEKT_Lm4ENS6_16DefaultPtrTraitsEiEENS_6detail16IndexBoundsCheckILm5EiEESD_Lm5ESE_iEENS8_INS9_ISB_SC_Lm4ESE_iEESI_SC_Lm5ESE_iEESJ_PSD_iiiiiiiii
    .private_segment_fixed_size: 0
    .sgpr_count:     86
    .sgpr_spill_count: 0
    .symbol:         _ZN2at6native12_GLOBAL__N_128conv_depthwise3d_cuda_kernelIN3c108BFloat16EfLin1ELin1ELin1ELin1ELin1ELin1EEEvN5torch10headeronly6detail27GenericPackedTensorAccessorINS7_14TensorAccessorINS3_8ArrayRefIlEEKT_Lm4ENS6_16DefaultPtrTraitsEiEENS_6detail16IndexBoundsCheckILm5EiEESD_Lm5ESE_iEENS8_INS9_ISB_SC_Lm4ESE_iEESI_SC_Lm5ESE_iEESJ_PSD_iiiiiiiii.kd
    .uniform_work_group_size: 1
    .uses_dynamic_stack: false
    .vgpr_count:     25
    .vgpr_spill_count: 0
    .wavefront_size: 64
  - .args:
      - .offset:         0
        .size:           48
        .value_kind:     by_value
      - .offset:         48
        .size:           48
        .value_kind:     by_value
      - .offset:         96
        .size:           48
        .value_kind:     by_value
      - .offset:         144
        .size:           4
        .value_kind:     by_value
      - .offset:         148
        .size:           4
        .value_kind:     by_value
      - .offset:         152
        .size:           4
        .value_kind:     by_value
      - .offset:         156
        .size:           4
        .value_kind:     by_value
      - .offset:         160
        .size:           4
        .value_kind:     by_value
      - .offset:         164
        .size:           4
        .value_kind:     by_value
      - .offset:         168
        .size:           4
        .value_kind:     by_value
      - .offset:         172
        .size:           4
        .value_kind:     by_value
      - .offset:         176
        .size:           4
        .value_kind:     by_value
      - .offset:         184
        .size:           4
        .value_kind:     hidden_block_count_x
      - .offset:         188
        .size:           4
        .value_kind:     hidden_block_count_y
      - .offset:         192
        .size:           4
        .value_kind:     hidden_block_count_z
      - .offset:         196
        .size:           2
        .value_kind:     hidden_group_size_x
      - .offset:         198
        .size:           2
        .value_kind:     hidden_group_size_y
      - .offset:         200
        .size:           2
        .value_kind:     hidden_group_size_z
      - .offset:         202
        .size:           2
        .value_kind:     hidden_remainder_x
      - .offset:         204
        .size:           2
        .value_kind:     hidden_remainder_y
      - .offset:         206
        .size:           2
        .value_kind:     hidden_remainder_z
      - .offset:         224
        .size:           8
        .value_kind:     hidden_global_offset_x
      - .offset:         232
        .size:           8
        .value_kind:     hidden_global_offset_y
      - .offset:         240
        .size:           8
        .value_kind:     hidden_global_offset_z
      - .offset:         248
        .size:           2
        .value_kind:     hidden_grid_dims
    .group_segment_fixed_size: 0
    .kernarg_segment_align: 8
    .kernarg_segment_size: 440
    .language:       OpenCL C
    .language_version:
      - 2
      - 0
    .max_flat_workgroup_size: 1024
    .name:           _ZN2at6native12_GLOBAL__N_143conv_depthwise3d_cuda_backward_input_kernelIddLi3ELi3ELi3ELi1ELi1ELi1ELi1ELi1ELi1EEEvN5torch10headeronly6detail27GenericPackedTensorAccessorINS5_14TensorAccessorIN3c108ArrayRefIlEEKT_Lm4ENS4_16DefaultPtrTraitsEiEENS_6detail16IndexBoundsCheckILm5EiEESC_Lm5ESD_iEENS6_INS7_ISA_SB_Lm4ESD_iEESH_SB_Lm5ESD_iEESI_iiiiiiiii
    .private_segment_fixed_size: 500
    .sgpr_count:     104
    .sgpr_spill_count: 13
    .symbol:         _ZN2at6native12_GLOBAL__N_143conv_depthwise3d_cuda_backward_input_kernelIddLi3ELi3ELi3ELi1ELi1ELi1ELi1ELi1ELi1EEEvN5torch10headeronly6detail27GenericPackedTensorAccessorINS5_14TensorAccessorIN3c108ArrayRefIlEEKT_Lm4ENS4_16DefaultPtrTraitsEiEENS_6detail16IndexBoundsCheckILm5EiEESC_Lm5ESD_iEENS6_INS7_ISA_SB_Lm4ESD_iEESH_SB_Lm5ESD_iEESI_iiiiiiiii.kd
    .uniform_work_group_size: 1
    .uses_dynamic_stack: false
    .vgpr_count:     64
    .vgpr_spill_count: 146
    .wavefront_size: 64
  - .args:
      - .offset:         0
        .size:           48
        .value_kind:     by_value
      - .offset:         48
        .size:           48
        .value_kind:     by_value
      - .offset:         96
        .size:           48
        .value_kind:     by_value
      - .offset:         144
        .size:           4
        .value_kind:     by_value
      - .offset:         148
        .size:           4
        .value_kind:     by_value
      - .offset:         152
        .size:           4
        .value_kind:     by_value
      - .offset:         156
        .size:           4
        .value_kind:     by_value
      - .offset:         160
        .size:           4
        .value_kind:     by_value
      - .offset:         164
        .size:           4
        .value_kind:     by_value
      - .offset:         168
        .size:           4
        .value_kind:     by_value
      - .offset:         172
        .size:           4
        .value_kind:     by_value
      - .offset:         176
        .size:           4
        .value_kind:     by_value
      - .offset:         184
        .size:           4
        .value_kind:     hidden_block_count_x
      - .offset:         188
        .size:           4
        .value_kind:     hidden_block_count_y
      - .offset:         192
        .size:           4
        .value_kind:     hidden_block_count_z
      - .offset:         196
        .size:           2
        .value_kind:     hidden_group_size_x
      - .offset:         198
        .size:           2
        .value_kind:     hidden_group_size_y
      - .offset:         200
        .size:           2
        .value_kind:     hidden_group_size_z
      - .offset:         202
        .size:           2
        .value_kind:     hidden_remainder_x
      - .offset:         204
        .size:           2
        .value_kind:     hidden_remainder_y
      - .offset:         206
        .size:           2
        .value_kind:     hidden_remainder_z
      - .offset:         224
        .size:           8
        .value_kind:     hidden_global_offset_x
      - .offset:         232
        .size:           8
        .value_kind:     hidden_global_offset_y
      - .offset:         240
        .size:           8
        .value_kind:     hidden_global_offset_z
      - .offset:         248
        .size:           2
        .value_kind:     hidden_grid_dims
    .group_segment_fixed_size: 0
    .kernarg_segment_align: 8
    .kernarg_segment_size: 440
    .language:       OpenCL C
    .language_version:
      - 2
      - 0
    .max_flat_workgroup_size: 1024
    .name:           _ZN2at6native12_GLOBAL__N_143conv_depthwise3d_cuda_backward_input_kernelIddLi3ELi3ELi3ELi1ELi1ELi1ELin1ELin1ELin1EEEvN5torch10headeronly6detail27GenericPackedTensorAccessorINS5_14TensorAccessorIN3c108ArrayRefIlEEKT_Lm4ENS4_16DefaultPtrTraitsEiEENS_6detail16IndexBoundsCheckILm5EiEESC_Lm5ESD_iEENS6_INS7_ISA_SB_Lm4ESD_iEESH_SB_Lm5ESD_iEESI_iiiiiiiii
    .private_segment_fixed_size: 520
    .sgpr_count:     104
    .sgpr_spill_count: 72
    .symbol:         _ZN2at6native12_GLOBAL__N_143conv_depthwise3d_cuda_backward_input_kernelIddLi3ELi3ELi3ELi1ELi1ELi1ELin1ELin1ELin1EEEvN5torch10headeronly6detail27GenericPackedTensorAccessorINS5_14TensorAccessorIN3c108ArrayRefIlEEKT_Lm4ENS4_16DefaultPtrTraitsEiEENS_6detail16IndexBoundsCheckILm5EiEESC_Lm5ESD_iEENS6_INS7_ISA_SB_Lm4ESD_iEESH_SB_Lm5ESD_iEESI_iiiiiiiii.kd
    .uniform_work_group_size: 1
    .uses_dynamic_stack: false
    .vgpr_count:     64
    .vgpr_spill_count: 149
    .wavefront_size: 64
  - .args:
      - .offset:         0
        .size:           48
        .value_kind:     by_value
      - .offset:         48
        .size:           48
        .value_kind:     by_value
      - .offset:         96
        .size:           48
        .value_kind:     by_value
      - .offset:         144
        .size:           4
        .value_kind:     by_value
      - .offset:         148
        .size:           4
        .value_kind:     by_value
      - .offset:         152
        .size:           4
        .value_kind:     by_value
      - .offset:         156
        .size:           4
        .value_kind:     by_value
      - .offset:         160
        .size:           4
        .value_kind:     by_value
      - .offset:         164
        .size:           4
        .value_kind:     by_value
      - .offset:         168
        .size:           4
        .value_kind:     by_value
      - .offset:         172
        .size:           4
        .value_kind:     by_value
      - .offset:         176
        .size:           4
        .value_kind:     by_value
      - .offset:         184
        .size:           4
        .value_kind:     hidden_block_count_x
      - .offset:         188
        .size:           4
        .value_kind:     hidden_block_count_y
      - .offset:         192
        .size:           4
        .value_kind:     hidden_block_count_z
      - .offset:         196
        .size:           2
        .value_kind:     hidden_group_size_x
      - .offset:         198
        .size:           2
        .value_kind:     hidden_group_size_y
      - .offset:         200
        .size:           2
        .value_kind:     hidden_group_size_z
      - .offset:         202
        .size:           2
        .value_kind:     hidden_remainder_x
      - .offset:         204
        .size:           2
        .value_kind:     hidden_remainder_y
      - .offset:         206
        .size:           2
        .value_kind:     hidden_remainder_z
      - .offset:         224
        .size:           8
        .value_kind:     hidden_global_offset_x
      - .offset:         232
        .size:           8
        .value_kind:     hidden_global_offset_y
      - .offset:         240
        .size:           8
        .value_kind:     hidden_global_offset_z
      - .offset:         248
        .size:           2
        .value_kind:     hidden_grid_dims
    .group_segment_fixed_size: 0
    .kernarg_segment_align: 8
    .kernarg_segment_size: 440
    .language:       OpenCL C
    .language_version:
      - 2
      - 0
    .max_flat_workgroup_size: 1024
    .name:           _ZN2at6native12_GLOBAL__N_143conv_depthwise3d_cuda_backward_input_kernelIddLi3ELi3ELi3ELin1ELin1ELin1ELi1ELi1ELi1EEEvN5torch10headeronly6detail27GenericPackedTensorAccessorINS5_14TensorAccessorIN3c108ArrayRefIlEEKT_Lm4ENS4_16DefaultPtrTraitsEiEENS_6detail16IndexBoundsCheckILm5EiEESC_Lm5ESD_iEENS6_INS7_ISA_SB_Lm4ESD_iEESH_SB_Lm5ESD_iEESI_iiiiiiiii
    .private_segment_fixed_size: 500
    .sgpr_count:     104
    .sgpr_spill_count: 17
    .symbol:         _ZN2at6native12_GLOBAL__N_143conv_depthwise3d_cuda_backward_input_kernelIddLi3ELi3ELi3ELin1ELin1ELin1ELi1ELi1ELi1EEEvN5torch10headeronly6detail27GenericPackedTensorAccessorINS5_14TensorAccessorIN3c108ArrayRefIlEEKT_Lm4ENS4_16DefaultPtrTraitsEiEENS_6detail16IndexBoundsCheckILm5EiEESC_Lm5ESD_iEENS6_INS7_ISA_SB_Lm4ESD_iEESH_SB_Lm5ESD_iEESI_iiiiiiiii.kd
    .uniform_work_group_size: 1
    .uses_dynamic_stack: false
    .vgpr_count:     64
    .vgpr_spill_count: 146
    .wavefront_size: 64
  - .args:
      - .offset:         0
        .size:           48
        .value_kind:     by_value
      - .offset:         48
        .size:           48
        .value_kind:     by_value
      - .offset:         96
        .size:           48
        .value_kind:     by_value
      - .offset:         144
        .size:           4
        .value_kind:     by_value
      - .offset:         148
        .size:           4
        .value_kind:     by_value
      - .offset:         152
        .size:           4
        .value_kind:     by_value
      - .offset:         156
        .size:           4
        .value_kind:     by_value
      - .offset:         160
        .size:           4
        .value_kind:     by_value
      - .offset:         164
        .size:           4
        .value_kind:     by_value
      - .offset:         168
        .size:           4
        .value_kind:     by_value
      - .offset:         172
        .size:           4
        .value_kind:     by_value
      - .offset:         176
        .size:           4
        .value_kind:     by_value
      - .offset:         184
        .size:           4
        .value_kind:     hidden_block_count_x
      - .offset:         188
        .size:           4
        .value_kind:     hidden_block_count_y
      - .offset:         192
        .size:           4
        .value_kind:     hidden_block_count_z
      - .offset:         196
        .size:           2
        .value_kind:     hidden_group_size_x
      - .offset:         198
        .size:           2
        .value_kind:     hidden_group_size_y
      - .offset:         200
        .size:           2
        .value_kind:     hidden_group_size_z
      - .offset:         202
        .size:           2
        .value_kind:     hidden_remainder_x
      - .offset:         204
        .size:           2
        .value_kind:     hidden_remainder_y
      - .offset:         206
        .size:           2
        .value_kind:     hidden_remainder_z
      - .offset:         224
        .size:           8
        .value_kind:     hidden_global_offset_x
      - .offset:         232
        .size:           8
        .value_kind:     hidden_global_offset_y
      - .offset:         240
        .size:           8
        .value_kind:     hidden_global_offset_z
      - .offset:         248
        .size:           2
        .value_kind:     hidden_grid_dims
    .group_segment_fixed_size: 0
    .kernarg_segment_align: 8
    .kernarg_segment_size: 440
    .language:       OpenCL C
    .language_version:
      - 2
      - 0
    .max_flat_workgroup_size: 1024
    .name:           _ZN2at6native12_GLOBAL__N_143conv_depthwise3d_cuda_backward_input_kernelIddLi3ELi3ELi3ELin1ELin1ELin1ELin1ELin1ELin1EEEvN5torch10headeronly6detail27GenericPackedTensorAccessorINS5_14TensorAccessorIN3c108ArrayRefIlEEKT_Lm4ENS4_16DefaultPtrTraitsEiEENS_6detail16IndexBoundsCheckILm5EiEESC_Lm5ESD_iEENS6_INS7_ISA_SB_Lm4ESD_iEESH_SB_Lm5ESD_iEESI_iiiiiiiii
    .private_segment_fixed_size: 516
    .sgpr_count:     104
    .sgpr_spill_count: 76
    .symbol:         _ZN2at6native12_GLOBAL__N_143conv_depthwise3d_cuda_backward_input_kernelIddLi3ELi3ELi3ELin1ELin1ELin1ELin1ELin1ELin1EEEvN5torch10headeronly6detail27GenericPackedTensorAccessorINS5_14TensorAccessorIN3c108ArrayRefIlEEKT_Lm4ENS4_16DefaultPtrTraitsEiEENS_6detail16IndexBoundsCheckILm5EiEESC_Lm5ESD_iEENS6_INS7_ISA_SB_Lm4ESD_iEESH_SB_Lm5ESD_iEESI_iiiiiiiii.kd
    .uniform_work_group_size: 1
    .uses_dynamic_stack: false
    .vgpr_count:     64
    .vgpr_spill_count: 148
    .wavefront_size: 64
  - .args:
      - .offset:         0
        .size:           48
        .value_kind:     by_value
      - .offset:         48
        .size:           48
        .value_kind:     by_value
      - .offset:         96
        .size:           48
        .value_kind:     by_value
      - .offset:         144
        .size:           4
        .value_kind:     by_value
      - .offset:         148
        .size:           4
        .value_kind:     by_value
      - .offset:         152
        .size:           4
        .value_kind:     by_value
      - .offset:         156
        .size:           4
        .value_kind:     by_value
      - .offset:         160
        .size:           4
        .value_kind:     by_value
      - .offset:         164
        .size:           4
        .value_kind:     by_value
      - .offset:         168
        .size:           4
        .value_kind:     by_value
      - .offset:         172
        .size:           4
        .value_kind:     by_value
      - .offset:         176
        .size:           4
        .value_kind:     by_value
      - .offset:         184
        .size:           4
        .value_kind:     hidden_block_count_x
      - .offset:         188
        .size:           4
        .value_kind:     hidden_block_count_y
      - .offset:         192
        .size:           4
        .value_kind:     hidden_block_count_z
      - .offset:         196
        .size:           2
        .value_kind:     hidden_group_size_x
      - .offset:         198
        .size:           2
        .value_kind:     hidden_group_size_y
      - .offset:         200
        .size:           2
        .value_kind:     hidden_group_size_z
      - .offset:         202
        .size:           2
        .value_kind:     hidden_remainder_x
      - .offset:         204
        .size:           2
        .value_kind:     hidden_remainder_y
      - .offset:         206
        .size:           2
        .value_kind:     hidden_remainder_z
      - .offset:         224
        .size:           8
        .value_kind:     hidden_global_offset_x
      - .offset:         232
        .size:           8
        .value_kind:     hidden_global_offset_y
      - .offset:         240
        .size:           8
        .value_kind:     hidden_global_offset_z
      - .offset:         248
        .size:           2
        .value_kind:     hidden_grid_dims
    .group_segment_fixed_size: 0
    .kernarg_segment_align: 8
    .kernarg_segment_size: 440
    .language:       OpenCL C
    .language_version:
      - 2
      - 0
    .max_flat_workgroup_size: 1024
    .name:           _ZN2at6native12_GLOBAL__N_143conv_depthwise3d_cuda_backward_input_kernelIddLin1ELin1ELin1ELin1ELin1ELin1ELin1ELin1ELin1EEEvN5torch10headeronly6detail27GenericPackedTensorAccessorINS5_14TensorAccessorIN3c108ArrayRefIlEEKT_Lm4ENS4_16DefaultPtrTraitsEiEENS_6detail16IndexBoundsCheckILm5EiEESC_Lm5ESD_iEENS6_INS7_ISA_SB_Lm4ESD_iEESH_SB_Lm5ESD_iEESI_iiiiiiiii
    .private_segment_fixed_size: 0
    .sgpr_count:     85
    .sgpr_spill_count: 0
    .symbol:         _ZN2at6native12_GLOBAL__N_143conv_depthwise3d_cuda_backward_input_kernelIddLin1ELin1ELin1ELin1ELin1ELin1ELin1ELin1ELin1EEEvN5torch10headeronly6detail27GenericPackedTensorAccessorINS5_14TensorAccessorIN3c108ArrayRefIlEEKT_Lm4ENS4_16DefaultPtrTraitsEiEENS_6detail16IndexBoundsCheckILm5EiEESC_Lm5ESD_iEENS6_INS7_ISA_SB_Lm4ESD_iEESH_SB_Lm5ESD_iEESI_iiiiiiiii.kd
    .uniform_work_group_size: 1
    .uses_dynamic_stack: false
    .vgpr_count:     35
    .vgpr_spill_count: 0
    .wavefront_size: 64
  - .args:
      - .offset:         0
        .size:           48
        .value_kind:     by_value
      - .offset:         48
        .size:           48
        .value_kind:     by_value
      - .offset:         96
        .size:           48
        .value_kind:     by_value
      - .offset:         144
        .size:           4
        .value_kind:     by_value
      - .offset:         148
        .size:           4
        .value_kind:     by_value
      - .offset:         152
        .size:           4
        .value_kind:     by_value
      - .offset:         156
        .size:           4
        .value_kind:     by_value
      - .offset:         160
        .size:           4
        .value_kind:     by_value
      - .offset:         164
        .size:           4
        .value_kind:     by_value
      - .offset:         168
        .size:           4
        .value_kind:     by_value
      - .offset:         172
        .size:           4
        .value_kind:     by_value
      - .offset:         176
        .size:           4
        .value_kind:     by_value
      - .offset:         184
        .size:           4
        .value_kind:     hidden_block_count_x
      - .offset:         188
        .size:           4
        .value_kind:     hidden_block_count_y
      - .offset:         192
        .size:           4
        .value_kind:     hidden_block_count_z
      - .offset:         196
        .size:           2
        .value_kind:     hidden_group_size_x
      - .offset:         198
        .size:           2
        .value_kind:     hidden_group_size_y
      - .offset:         200
        .size:           2
        .value_kind:     hidden_group_size_z
      - .offset:         202
        .size:           2
        .value_kind:     hidden_remainder_x
      - .offset:         204
        .size:           2
        .value_kind:     hidden_remainder_y
      - .offset:         206
        .size:           2
        .value_kind:     hidden_remainder_z
      - .offset:         224
        .size:           8
        .value_kind:     hidden_global_offset_x
      - .offset:         232
        .size:           8
        .value_kind:     hidden_global_offset_y
      - .offset:         240
        .size:           8
        .value_kind:     hidden_global_offset_z
      - .offset:         248
        .size:           2
        .value_kind:     hidden_grid_dims
    .group_segment_fixed_size: 0
    .kernarg_segment_align: 8
    .kernarg_segment_size: 440
    .language:       OpenCL C
    .language_version:
      - 2
      - 0
    .max_flat_workgroup_size: 1024
    .name:           _ZN2at6native12_GLOBAL__N_143conv_depthwise3d_cuda_backward_input_kernelIffLi3ELi3ELi3ELi1ELi1ELi1ELi1ELi1ELi1EEEvN5torch10headeronly6detail27GenericPackedTensorAccessorINS5_14TensorAccessorIN3c108ArrayRefIlEEKT_Lm4ENS4_16DefaultPtrTraitsEiEENS_6detail16IndexBoundsCheckILm5EiEESC_Lm5ESD_iEENS6_INS7_ISA_SB_Lm4ESD_iEESH_SB_Lm5ESD_iEESI_iiiiiiiii
    .private_segment_fixed_size: 280
    .sgpr_count:     104
    .sgpr_spill_count: 13
    .symbol:         _ZN2at6native12_GLOBAL__N_143conv_depthwise3d_cuda_backward_input_kernelIffLi3ELi3ELi3ELi1ELi1ELi1ELi1ELi1ELi1EEEvN5torch10headeronly6detail27GenericPackedTensorAccessorINS5_14TensorAccessorIN3c108ArrayRefIlEEKT_Lm4ENS4_16DefaultPtrTraitsEiEENS_6detail16IndexBoundsCheckILm5EiEESC_Lm5ESD_iEENS6_INS7_ISA_SB_Lm4ESD_iEESH_SB_Lm5ESD_iEESI_iiiiiiiii.kd
    .uniform_work_group_size: 1
    .uses_dynamic_stack: false
    .vgpr_count:     64
    .vgpr_spill_count: 69
    .wavefront_size: 64
  - .args:
      - .offset:         0
        .size:           48
        .value_kind:     by_value
      - .offset:         48
        .size:           48
        .value_kind:     by_value
      - .offset:         96
        .size:           48
        .value_kind:     by_value
      - .offset:         144
        .size:           4
        .value_kind:     by_value
      - .offset:         148
        .size:           4
        .value_kind:     by_value
      - .offset:         152
        .size:           4
        .value_kind:     by_value
      - .offset:         156
        .size:           4
        .value_kind:     by_value
      - .offset:         160
        .size:           4
        .value_kind:     by_value
      - .offset:         164
        .size:           4
        .value_kind:     by_value
      - .offset:         168
        .size:           4
        .value_kind:     by_value
      - .offset:         172
        .size:           4
        .value_kind:     by_value
      - .offset:         176
        .size:           4
        .value_kind:     by_value
      - .offset:         184
        .size:           4
        .value_kind:     hidden_block_count_x
      - .offset:         188
        .size:           4
        .value_kind:     hidden_block_count_y
      - .offset:         192
        .size:           4
        .value_kind:     hidden_block_count_z
      - .offset:         196
        .size:           2
        .value_kind:     hidden_group_size_x
      - .offset:         198
        .size:           2
        .value_kind:     hidden_group_size_y
      - .offset:         200
        .size:           2
        .value_kind:     hidden_group_size_z
      - .offset:         202
        .size:           2
        .value_kind:     hidden_remainder_x
      - .offset:         204
        .size:           2
        .value_kind:     hidden_remainder_y
      - .offset:         206
        .size:           2
        .value_kind:     hidden_remainder_z
      - .offset:         224
        .size:           8
        .value_kind:     hidden_global_offset_x
      - .offset:         232
        .size:           8
        .value_kind:     hidden_global_offset_y
      - .offset:         240
        .size:           8
        .value_kind:     hidden_global_offset_z
      - .offset:         248
        .size:           2
        .value_kind:     hidden_grid_dims
    .group_segment_fixed_size: 0
    .kernarg_segment_align: 8
    .kernarg_segment_size: 440
    .language:       OpenCL C
    .language_version:
      - 2
      - 0
    .max_flat_workgroup_size: 1024
    .name:           _ZN2at6native12_GLOBAL__N_143conv_depthwise3d_cuda_backward_input_kernelIffLi3ELi3ELi3ELi1ELi1ELi1ELin1ELin1ELin1EEEvN5torch10headeronly6detail27GenericPackedTensorAccessorINS5_14TensorAccessorIN3c108ArrayRefIlEEKT_Lm4ENS4_16DefaultPtrTraitsEiEENS_6detail16IndexBoundsCheckILm5EiEESC_Lm5ESD_iEENS6_INS7_ISA_SB_Lm4ESD_iEESH_SB_Lm5ESD_iEESI_iiiiiiiii
    .private_segment_fixed_size: 292
    .sgpr_count:     104
    .sgpr_spill_count: 72
    .symbol:         _ZN2at6native12_GLOBAL__N_143conv_depthwise3d_cuda_backward_input_kernelIffLi3ELi3ELi3ELi1ELi1ELi1ELin1ELin1ELin1EEEvN5torch10headeronly6detail27GenericPackedTensorAccessorINS5_14TensorAccessorIN3c108ArrayRefIlEEKT_Lm4ENS4_16DefaultPtrTraitsEiEENS_6detail16IndexBoundsCheckILm5EiEESC_Lm5ESD_iEENS6_INS7_ISA_SB_Lm4ESD_iEESH_SB_Lm5ESD_iEESI_iiiiiiiii.kd
    .uniform_work_group_size: 1
    .uses_dynamic_stack: false
    .vgpr_count:     64
    .vgpr_spill_count: 72
    .wavefront_size: 64
  - .args:
      - .offset:         0
        .size:           48
        .value_kind:     by_value
      - .offset:         48
        .size:           48
        .value_kind:     by_value
      - .offset:         96
        .size:           48
        .value_kind:     by_value
      - .offset:         144
        .size:           4
        .value_kind:     by_value
      - .offset:         148
        .size:           4
        .value_kind:     by_value
      - .offset:         152
        .size:           4
        .value_kind:     by_value
      - .offset:         156
        .size:           4
        .value_kind:     by_value
      - .offset:         160
        .size:           4
        .value_kind:     by_value
      - .offset:         164
        .size:           4
        .value_kind:     by_value
      - .offset:         168
        .size:           4
        .value_kind:     by_value
      - .offset:         172
        .size:           4
        .value_kind:     by_value
      - .offset:         176
        .size:           4
        .value_kind:     by_value
      - .offset:         184
        .size:           4
        .value_kind:     hidden_block_count_x
      - .offset:         188
        .size:           4
        .value_kind:     hidden_block_count_y
      - .offset:         192
        .size:           4
        .value_kind:     hidden_block_count_z
      - .offset:         196
        .size:           2
        .value_kind:     hidden_group_size_x
      - .offset:         198
        .size:           2
        .value_kind:     hidden_group_size_y
      - .offset:         200
        .size:           2
        .value_kind:     hidden_group_size_z
      - .offset:         202
        .size:           2
        .value_kind:     hidden_remainder_x
      - .offset:         204
        .size:           2
        .value_kind:     hidden_remainder_y
      - .offset:         206
        .size:           2
        .value_kind:     hidden_remainder_z
      - .offset:         224
        .size:           8
        .value_kind:     hidden_global_offset_x
      - .offset:         232
        .size:           8
        .value_kind:     hidden_global_offset_y
      - .offset:         240
        .size:           8
        .value_kind:     hidden_global_offset_z
      - .offset:         248
        .size:           2
        .value_kind:     hidden_grid_dims
    .group_segment_fixed_size: 0
    .kernarg_segment_align: 8
    .kernarg_segment_size: 440
    .language:       OpenCL C
    .language_version:
      - 2
      - 0
    .max_flat_workgroup_size: 1024
    .name:           _ZN2at6native12_GLOBAL__N_143conv_depthwise3d_cuda_backward_input_kernelIffLi3ELi3ELi3ELin1ELin1ELin1ELi1ELi1ELi1EEEvN5torch10headeronly6detail27GenericPackedTensorAccessorINS5_14TensorAccessorIN3c108ArrayRefIlEEKT_Lm4ENS4_16DefaultPtrTraitsEiEENS_6detail16IndexBoundsCheckILm5EiEESC_Lm5ESD_iEENS6_INS7_ISA_SB_Lm4ESD_iEESH_SB_Lm5ESD_iEESI_iiiiiiiii
    .private_segment_fixed_size: 280
    .sgpr_count:     104
    .sgpr_spill_count: 17
    .symbol:         _ZN2at6native12_GLOBAL__N_143conv_depthwise3d_cuda_backward_input_kernelIffLi3ELi3ELi3ELin1ELin1ELin1ELi1ELi1ELi1EEEvN5torch10headeronly6detail27GenericPackedTensorAccessorINS5_14TensorAccessorIN3c108ArrayRefIlEEKT_Lm4ENS4_16DefaultPtrTraitsEiEENS_6detail16IndexBoundsCheckILm5EiEESC_Lm5ESD_iEENS6_INS7_ISA_SB_Lm4ESD_iEESH_SB_Lm5ESD_iEESI_iiiiiiiii.kd
    .uniform_work_group_size: 1
    .uses_dynamic_stack: false
    .vgpr_count:     64
    .vgpr_spill_count: 69
    .wavefront_size: 64
  - .args:
      - .offset:         0
        .size:           48
        .value_kind:     by_value
      - .offset:         48
        .size:           48
        .value_kind:     by_value
      - .offset:         96
        .size:           48
        .value_kind:     by_value
      - .offset:         144
        .size:           4
        .value_kind:     by_value
      - .offset:         148
        .size:           4
        .value_kind:     by_value
      - .offset:         152
        .size:           4
        .value_kind:     by_value
      - .offset:         156
        .size:           4
        .value_kind:     by_value
      - .offset:         160
        .size:           4
        .value_kind:     by_value
      - .offset:         164
        .size:           4
        .value_kind:     by_value
      - .offset:         168
        .size:           4
        .value_kind:     by_value
      - .offset:         172
        .size:           4
        .value_kind:     by_value
      - .offset:         176
        .size:           4
        .value_kind:     by_value
      - .offset:         184
        .size:           4
        .value_kind:     hidden_block_count_x
      - .offset:         188
        .size:           4
        .value_kind:     hidden_block_count_y
      - .offset:         192
        .size:           4
        .value_kind:     hidden_block_count_z
      - .offset:         196
        .size:           2
        .value_kind:     hidden_group_size_x
      - .offset:         198
        .size:           2
        .value_kind:     hidden_group_size_y
      - .offset:         200
        .size:           2
        .value_kind:     hidden_group_size_z
      - .offset:         202
        .size:           2
        .value_kind:     hidden_remainder_x
      - .offset:         204
        .size:           2
        .value_kind:     hidden_remainder_y
      - .offset:         206
        .size:           2
        .value_kind:     hidden_remainder_z
      - .offset:         224
        .size:           8
        .value_kind:     hidden_global_offset_x
      - .offset:         232
        .size:           8
        .value_kind:     hidden_global_offset_y
      - .offset:         240
        .size:           8
        .value_kind:     hidden_global_offset_z
      - .offset:         248
        .size:           2
        .value_kind:     hidden_grid_dims
    .group_segment_fixed_size: 0
    .kernarg_segment_align: 8
    .kernarg_segment_size: 440
    .language:       OpenCL C
    .language_version:
      - 2
      - 0
    .max_flat_workgroup_size: 1024
    .name:           _ZN2at6native12_GLOBAL__N_143conv_depthwise3d_cuda_backward_input_kernelIffLi3ELi3ELi3ELin1ELin1ELin1ELin1ELin1ELin1EEEvN5torch10headeronly6detail27GenericPackedTensorAccessorINS5_14TensorAccessorIN3c108ArrayRefIlEEKT_Lm4ENS4_16DefaultPtrTraitsEiEENS_6detail16IndexBoundsCheckILm5EiEESC_Lm5ESD_iEENS6_INS7_ISA_SB_Lm4ESD_iEESH_SB_Lm5ESD_iEESI_iiiiiiiii
    .private_segment_fixed_size: 288
    .sgpr_count:     104
    .sgpr_spill_count: 76
    .symbol:         _ZN2at6native12_GLOBAL__N_143conv_depthwise3d_cuda_backward_input_kernelIffLi3ELi3ELi3ELin1ELin1ELin1ELin1ELin1ELin1EEEvN5torch10headeronly6detail27GenericPackedTensorAccessorINS5_14TensorAccessorIN3c108ArrayRefIlEEKT_Lm4ENS4_16DefaultPtrTraitsEiEENS_6detail16IndexBoundsCheckILm5EiEESC_Lm5ESD_iEENS6_INS7_ISA_SB_Lm4ESD_iEESH_SB_Lm5ESD_iEESI_iiiiiiiii.kd
    .uniform_work_group_size: 1
    .uses_dynamic_stack: false
    .vgpr_count:     64
    .vgpr_spill_count: 71
    .wavefront_size: 64
  - .args:
      - .offset:         0
        .size:           48
        .value_kind:     by_value
      - .offset:         48
        .size:           48
        .value_kind:     by_value
      - .offset:         96
        .size:           48
        .value_kind:     by_value
      - .offset:         144
        .size:           4
        .value_kind:     by_value
      - .offset:         148
        .size:           4
        .value_kind:     by_value
      - .offset:         152
        .size:           4
        .value_kind:     by_value
      - .offset:         156
        .size:           4
        .value_kind:     by_value
      - .offset:         160
        .size:           4
        .value_kind:     by_value
      - .offset:         164
        .size:           4
        .value_kind:     by_value
      - .offset:         168
        .size:           4
        .value_kind:     by_value
      - .offset:         172
        .size:           4
        .value_kind:     by_value
      - .offset:         176
        .size:           4
        .value_kind:     by_value
      - .offset:         184
        .size:           4
        .value_kind:     hidden_block_count_x
      - .offset:         188
        .size:           4
        .value_kind:     hidden_block_count_y
      - .offset:         192
        .size:           4
        .value_kind:     hidden_block_count_z
      - .offset:         196
        .size:           2
        .value_kind:     hidden_group_size_x
      - .offset:         198
        .size:           2
        .value_kind:     hidden_group_size_y
      - .offset:         200
        .size:           2
        .value_kind:     hidden_group_size_z
      - .offset:         202
        .size:           2
        .value_kind:     hidden_remainder_x
      - .offset:         204
        .size:           2
        .value_kind:     hidden_remainder_y
      - .offset:         206
        .size:           2
        .value_kind:     hidden_remainder_z
      - .offset:         224
        .size:           8
        .value_kind:     hidden_global_offset_x
      - .offset:         232
        .size:           8
        .value_kind:     hidden_global_offset_y
      - .offset:         240
        .size:           8
        .value_kind:     hidden_global_offset_z
      - .offset:         248
        .size:           2
        .value_kind:     hidden_grid_dims
    .group_segment_fixed_size: 0
    .kernarg_segment_align: 8
    .kernarg_segment_size: 440
    .language:       OpenCL C
    .language_version:
      - 2
      - 0
    .max_flat_workgroup_size: 1024
    .name:           _ZN2at6native12_GLOBAL__N_143conv_depthwise3d_cuda_backward_input_kernelIffLin1ELin1ELin1ELin1ELin1ELin1ELin1ELin1ELin1EEEvN5torch10headeronly6detail27GenericPackedTensorAccessorINS5_14TensorAccessorIN3c108ArrayRefIlEEKT_Lm4ENS4_16DefaultPtrTraitsEiEENS_6detail16IndexBoundsCheckILm5EiEESC_Lm5ESD_iEENS6_INS7_ISA_SB_Lm4ESD_iEESH_SB_Lm5ESD_iEESI_iiiiiiiii
    .private_segment_fixed_size: 0
    .sgpr_count:     85
    .sgpr_spill_count: 0
    .symbol:         _ZN2at6native12_GLOBAL__N_143conv_depthwise3d_cuda_backward_input_kernelIffLin1ELin1ELin1ELin1ELin1ELin1ELin1ELin1ELin1EEEvN5torch10headeronly6detail27GenericPackedTensorAccessorINS5_14TensorAccessorIN3c108ArrayRefIlEEKT_Lm4ENS4_16DefaultPtrTraitsEiEENS_6detail16IndexBoundsCheckILm5EiEESC_Lm5ESD_iEENS6_INS7_ISA_SB_Lm4ESD_iEESH_SB_Lm5ESD_iEESI_iiiiiiiii.kd
    .uniform_work_group_size: 1
    .uses_dynamic_stack: false
    .vgpr_count:     34
    .vgpr_spill_count: 0
    .wavefront_size: 64
  - .args:
      - .offset:         0
        .size:           48
        .value_kind:     by_value
      - .offset:         48
        .size:           48
        .value_kind:     by_value
      - .offset:         96
        .size:           48
        .value_kind:     by_value
      - .offset:         144
        .size:           4
        .value_kind:     by_value
      - .offset:         148
        .size:           4
        .value_kind:     by_value
      - .offset:         152
        .size:           4
        .value_kind:     by_value
      - .offset:         156
        .size:           4
        .value_kind:     by_value
      - .offset:         160
        .size:           4
        .value_kind:     by_value
      - .offset:         164
        .size:           4
        .value_kind:     by_value
      - .offset:         168
        .size:           4
        .value_kind:     by_value
      - .offset:         172
        .size:           4
        .value_kind:     by_value
      - .offset:         176
        .size:           4
        .value_kind:     by_value
      - .offset:         184
        .size:           4
        .value_kind:     hidden_block_count_x
      - .offset:         188
        .size:           4
        .value_kind:     hidden_block_count_y
      - .offset:         192
        .size:           4
        .value_kind:     hidden_block_count_z
      - .offset:         196
        .size:           2
        .value_kind:     hidden_group_size_x
      - .offset:         198
        .size:           2
        .value_kind:     hidden_group_size_y
      - .offset:         200
        .size:           2
        .value_kind:     hidden_group_size_z
      - .offset:         202
        .size:           2
        .value_kind:     hidden_remainder_x
      - .offset:         204
        .size:           2
        .value_kind:     hidden_remainder_y
      - .offset:         206
        .size:           2
        .value_kind:     hidden_remainder_z
      - .offset:         224
        .size:           8
        .value_kind:     hidden_global_offset_x
      - .offset:         232
        .size:           8
        .value_kind:     hidden_global_offset_y
      - .offset:         240
        .size:           8
        .value_kind:     hidden_global_offset_z
      - .offset:         248
        .size:           2
        .value_kind:     hidden_grid_dims
    .group_segment_fixed_size: 0
    .kernarg_segment_align: 8
    .kernarg_segment_size: 440
    .language:       OpenCL C
    .language_version:
      - 2
      - 0
    .max_flat_workgroup_size: 1024
    .name:           _ZN2at6native12_GLOBAL__N_143conv_depthwise3d_cuda_backward_input_kernelIN3c104HalfEfLi3ELi3ELi3ELi1ELi1ELi1ELi1ELi1ELi1EEEvN5torch10headeronly6detail27GenericPackedTensorAccessorINS7_14TensorAccessorINS3_8ArrayRefIlEEKT_Lm4ENS6_16DefaultPtrTraitsEiEENS_6detail16IndexBoundsCheckILm5EiEESD_Lm5ESE_iEENS8_INS9_ISB_SC_Lm4ESE_iEESI_SC_Lm5ESE_iEESJ_iiiiiiiii
    .private_segment_fixed_size: 276
    .sgpr_count:     104
    .sgpr_spill_count: 13
    .symbol:         _ZN2at6native12_GLOBAL__N_143conv_depthwise3d_cuda_backward_input_kernelIN3c104HalfEfLi3ELi3ELi3ELi1ELi1ELi1ELi1ELi1ELi1EEEvN5torch10headeronly6detail27GenericPackedTensorAccessorINS7_14TensorAccessorINS3_8ArrayRefIlEEKT_Lm4ENS6_16DefaultPtrTraitsEiEENS_6detail16IndexBoundsCheckILm5EiEESD_Lm5ESE_iEENS8_INS9_ISB_SC_Lm4ESE_iEESI_SC_Lm5ESE_iEESJ_iiiiiiiii.kd
    .uniform_work_group_size: 1
    .uses_dynamic_stack: false
    .vgpr_count:     64
    .vgpr_spill_count: 68
    .wavefront_size: 64
  - .args:
      - .offset:         0
        .size:           48
        .value_kind:     by_value
      - .offset:         48
        .size:           48
        .value_kind:     by_value
      - .offset:         96
        .size:           48
        .value_kind:     by_value
      - .offset:         144
        .size:           4
        .value_kind:     by_value
      - .offset:         148
        .size:           4
        .value_kind:     by_value
      - .offset:         152
        .size:           4
        .value_kind:     by_value
      - .offset:         156
        .size:           4
        .value_kind:     by_value
      - .offset:         160
        .size:           4
        .value_kind:     by_value
      - .offset:         164
        .size:           4
        .value_kind:     by_value
      - .offset:         168
        .size:           4
        .value_kind:     by_value
      - .offset:         172
        .size:           4
        .value_kind:     by_value
      - .offset:         176
        .size:           4
        .value_kind:     by_value
      - .offset:         184
        .size:           4
        .value_kind:     hidden_block_count_x
      - .offset:         188
        .size:           4
        .value_kind:     hidden_block_count_y
      - .offset:         192
        .size:           4
        .value_kind:     hidden_block_count_z
      - .offset:         196
        .size:           2
        .value_kind:     hidden_group_size_x
      - .offset:         198
        .size:           2
        .value_kind:     hidden_group_size_y
      - .offset:         200
        .size:           2
        .value_kind:     hidden_group_size_z
      - .offset:         202
        .size:           2
        .value_kind:     hidden_remainder_x
      - .offset:         204
        .size:           2
        .value_kind:     hidden_remainder_y
      - .offset:         206
        .size:           2
        .value_kind:     hidden_remainder_z
      - .offset:         224
        .size:           8
        .value_kind:     hidden_global_offset_x
      - .offset:         232
        .size:           8
        .value_kind:     hidden_global_offset_y
      - .offset:         240
        .size:           8
        .value_kind:     hidden_global_offset_z
      - .offset:         248
        .size:           2
        .value_kind:     hidden_grid_dims
    .group_segment_fixed_size: 0
    .kernarg_segment_align: 8
    .kernarg_segment_size: 440
    .language:       OpenCL C
    .language_version:
      - 2
      - 0
    .max_flat_workgroup_size: 1024
    .name:           _ZN2at6native12_GLOBAL__N_143conv_depthwise3d_cuda_backward_input_kernelIN3c104HalfEfLi3ELi3ELi3ELi1ELi1ELi1ELin1ELin1ELin1EEEvN5torch10headeronly6detail27GenericPackedTensorAccessorINS7_14TensorAccessorINS3_8ArrayRefIlEEKT_Lm4ENS6_16DefaultPtrTraitsEiEENS_6detail16IndexBoundsCheckILm5EiEESD_Lm5ESE_iEENS8_INS9_ISB_SC_Lm4ESE_iEESI_SC_Lm5ESE_iEESJ_iiiiiiiii
    .private_segment_fixed_size: 288
    .sgpr_count:     104
    .sgpr_spill_count: 68
    .symbol:         _ZN2at6native12_GLOBAL__N_143conv_depthwise3d_cuda_backward_input_kernelIN3c104HalfEfLi3ELi3ELi3ELi1ELi1ELi1ELin1ELin1ELin1EEEvN5torch10headeronly6detail27GenericPackedTensorAccessorINS7_14TensorAccessorINS3_8ArrayRefIlEEKT_Lm4ENS6_16DefaultPtrTraitsEiEENS_6detail16IndexBoundsCheckILm5EiEESD_Lm5ESE_iEENS8_INS9_ISB_SC_Lm4ESE_iEESI_SC_Lm5ESE_iEESJ_iiiiiiiii.kd
    .uniform_work_group_size: 1
    .uses_dynamic_stack: false
    .vgpr_count:     64
    .vgpr_spill_count: 71
    .wavefront_size: 64
  - .args:
      - .offset:         0
        .size:           48
        .value_kind:     by_value
      - .offset:         48
        .size:           48
        .value_kind:     by_value
      - .offset:         96
        .size:           48
        .value_kind:     by_value
      - .offset:         144
        .size:           4
        .value_kind:     by_value
      - .offset:         148
        .size:           4
        .value_kind:     by_value
      - .offset:         152
        .size:           4
        .value_kind:     by_value
      - .offset:         156
        .size:           4
        .value_kind:     by_value
      - .offset:         160
        .size:           4
        .value_kind:     by_value
      - .offset:         164
        .size:           4
        .value_kind:     by_value
      - .offset:         168
        .size:           4
        .value_kind:     by_value
      - .offset:         172
        .size:           4
        .value_kind:     by_value
      - .offset:         176
        .size:           4
        .value_kind:     by_value
      - .offset:         184
        .size:           4
        .value_kind:     hidden_block_count_x
      - .offset:         188
        .size:           4
        .value_kind:     hidden_block_count_y
      - .offset:         192
        .size:           4
        .value_kind:     hidden_block_count_z
      - .offset:         196
        .size:           2
        .value_kind:     hidden_group_size_x
      - .offset:         198
        .size:           2
        .value_kind:     hidden_group_size_y
      - .offset:         200
        .size:           2
        .value_kind:     hidden_group_size_z
      - .offset:         202
        .size:           2
        .value_kind:     hidden_remainder_x
      - .offset:         204
        .size:           2
        .value_kind:     hidden_remainder_y
      - .offset:         206
        .size:           2
        .value_kind:     hidden_remainder_z
      - .offset:         224
        .size:           8
        .value_kind:     hidden_global_offset_x
      - .offset:         232
        .size:           8
        .value_kind:     hidden_global_offset_y
      - .offset:         240
        .size:           8
        .value_kind:     hidden_global_offset_z
      - .offset:         248
        .size:           2
        .value_kind:     hidden_grid_dims
    .group_segment_fixed_size: 0
    .kernarg_segment_align: 8
    .kernarg_segment_size: 440
    .language:       OpenCL C
    .language_version:
      - 2
      - 0
    .max_flat_workgroup_size: 1024
    .name:           _ZN2at6native12_GLOBAL__N_143conv_depthwise3d_cuda_backward_input_kernelIN3c104HalfEfLi3ELi3ELi3ELin1ELin1ELin1ELi1ELi1ELi1EEEvN5torch10headeronly6detail27GenericPackedTensorAccessorINS7_14TensorAccessorINS3_8ArrayRefIlEEKT_Lm4ENS6_16DefaultPtrTraitsEiEENS_6detail16IndexBoundsCheckILm5EiEESD_Lm5ESE_iEENS8_INS9_ISB_SC_Lm4ESE_iEESI_SC_Lm5ESE_iEESJ_iiiiiiiii
    .private_segment_fixed_size: 276
    .sgpr_count:     104
    .sgpr_spill_count: 17
    .symbol:         _ZN2at6native12_GLOBAL__N_143conv_depthwise3d_cuda_backward_input_kernelIN3c104HalfEfLi3ELi3ELi3ELin1ELin1ELin1ELi1ELi1ELi1EEEvN5torch10headeronly6detail27GenericPackedTensorAccessorINS7_14TensorAccessorINS3_8ArrayRefIlEEKT_Lm4ENS6_16DefaultPtrTraitsEiEENS_6detail16IndexBoundsCheckILm5EiEESD_Lm5ESE_iEENS8_INS9_ISB_SC_Lm4ESE_iEESI_SC_Lm5ESE_iEESJ_iiiiiiiii.kd
    .uniform_work_group_size: 1
    .uses_dynamic_stack: false
    .vgpr_count:     64
    .vgpr_spill_count: 68
    .wavefront_size: 64
  - .args:
      - .offset:         0
        .size:           48
        .value_kind:     by_value
      - .offset:         48
        .size:           48
        .value_kind:     by_value
      - .offset:         96
        .size:           48
        .value_kind:     by_value
      - .offset:         144
        .size:           4
        .value_kind:     by_value
      - .offset:         148
        .size:           4
        .value_kind:     by_value
      - .offset:         152
        .size:           4
        .value_kind:     by_value
      - .offset:         156
        .size:           4
        .value_kind:     by_value
      - .offset:         160
        .size:           4
        .value_kind:     by_value
      - .offset:         164
        .size:           4
        .value_kind:     by_value
      - .offset:         168
        .size:           4
        .value_kind:     by_value
      - .offset:         172
        .size:           4
        .value_kind:     by_value
      - .offset:         176
        .size:           4
        .value_kind:     by_value
      - .offset:         184
        .size:           4
        .value_kind:     hidden_block_count_x
      - .offset:         188
        .size:           4
        .value_kind:     hidden_block_count_y
      - .offset:         192
        .size:           4
        .value_kind:     hidden_block_count_z
      - .offset:         196
        .size:           2
        .value_kind:     hidden_group_size_x
      - .offset:         198
        .size:           2
        .value_kind:     hidden_group_size_y
      - .offset:         200
        .size:           2
        .value_kind:     hidden_group_size_z
      - .offset:         202
        .size:           2
        .value_kind:     hidden_remainder_x
      - .offset:         204
        .size:           2
        .value_kind:     hidden_remainder_y
      - .offset:         206
        .size:           2
        .value_kind:     hidden_remainder_z
      - .offset:         224
        .size:           8
        .value_kind:     hidden_global_offset_x
      - .offset:         232
        .size:           8
        .value_kind:     hidden_global_offset_y
      - .offset:         240
        .size:           8
        .value_kind:     hidden_global_offset_z
      - .offset:         248
        .size:           2
        .value_kind:     hidden_grid_dims
    .group_segment_fixed_size: 0
    .kernarg_segment_align: 8
    .kernarg_segment_size: 440
    .language:       OpenCL C
    .language_version:
      - 2
      - 0
    .max_flat_workgroup_size: 1024
    .name:           _ZN2at6native12_GLOBAL__N_143conv_depthwise3d_cuda_backward_input_kernelIN3c104HalfEfLi3ELi3ELi3ELin1ELin1ELin1ELin1ELin1ELin1EEEvN5torch10headeronly6detail27GenericPackedTensorAccessorINS7_14TensorAccessorINS3_8ArrayRefIlEEKT_Lm4ENS6_16DefaultPtrTraitsEiEENS_6detail16IndexBoundsCheckILm5EiEESD_Lm5ESE_iEENS8_INS9_ISB_SC_Lm4ESE_iEESI_SC_Lm5ESE_iEESJ_iiiiiiiii
    .private_segment_fixed_size: 292
    .sgpr_count:     104
    .sgpr_spill_count: 74
    .symbol:         _ZN2at6native12_GLOBAL__N_143conv_depthwise3d_cuda_backward_input_kernelIN3c104HalfEfLi3ELi3ELi3ELin1ELin1ELin1ELin1ELin1ELin1EEEvN5torch10headeronly6detail27GenericPackedTensorAccessorINS7_14TensorAccessorINS3_8ArrayRefIlEEKT_Lm4ENS6_16DefaultPtrTraitsEiEENS_6detail16IndexBoundsCheckILm5EiEESD_Lm5ESE_iEENS8_INS9_ISB_SC_Lm4ESE_iEESI_SC_Lm5ESE_iEESJ_iiiiiiiii.kd
    .uniform_work_group_size: 1
    .uses_dynamic_stack: false
    .vgpr_count:     64
    .vgpr_spill_count: 72
    .wavefront_size: 64
  - .args:
      - .offset:         0
        .size:           48
        .value_kind:     by_value
      - .offset:         48
        .size:           48
        .value_kind:     by_value
      - .offset:         96
        .size:           48
        .value_kind:     by_value
      - .offset:         144
        .size:           4
        .value_kind:     by_value
      - .offset:         148
        .size:           4
        .value_kind:     by_value
      - .offset:         152
        .size:           4
        .value_kind:     by_value
      - .offset:         156
        .size:           4
        .value_kind:     by_value
      - .offset:         160
        .size:           4
        .value_kind:     by_value
      - .offset:         164
        .size:           4
        .value_kind:     by_value
      - .offset:         168
        .size:           4
        .value_kind:     by_value
      - .offset:         172
        .size:           4
        .value_kind:     by_value
      - .offset:         176
        .size:           4
        .value_kind:     by_value
      - .offset:         184
        .size:           4
        .value_kind:     hidden_block_count_x
      - .offset:         188
        .size:           4
        .value_kind:     hidden_block_count_y
      - .offset:         192
        .size:           4
        .value_kind:     hidden_block_count_z
      - .offset:         196
        .size:           2
        .value_kind:     hidden_group_size_x
      - .offset:         198
        .size:           2
        .value_kind:     hidden_group_size_y
      - .offset:         200
        .size:           2
        .value_kind:     hidden_group_size_z
      - .offset:         202
        .size:           2
        .value_kind:     hidden_remainder_x
      - .offset:         204
        .size:           2
        .value_kind:     hidden_remainder_y
      - .offset:         206
        .size:           2
        .value_kind:     hidden_remainder_z
      - .offset:         224
        .size:           8
        .value_kind:     hidden_global_offset_x
      - .offset:         232
        .size:           8
        .value_kind:     hidden_global_offset_y
      - .offset:         240
        .size:           8
        .value_kind:     hidden_global_offset_z
      - .offset:         248
        .size:           2
        .value_kind:     hidden_grid_dims
    .group_segment_fixed_size: 0
    .kernarg_segment_align: 8
    .kernarg_segment_size: 440
    .language:       OpenCL C
    .language_version:
      - 2
      - 0
    .max_flat_workgroup_size: 1024
    .name:           _ZN2at6native12_GLOBAL__N_143conv_depthwise3d_cuda_backward_input_kernelIN3c104HalfEfLin1ELin1ELin1ELin1ELin1ELin1ELin1ELin1ELin1EEEvN5torch10headeronly6detail27GenericPackedTensorAccessorINS7_14TensorAccessorINS3_8ArrayRefIlEEKT_Lm4ENS6_16DefaultPtrTraitsEiEENS_6detail16IndexBoundsCheckILm5EiEESD_Lm5ESE_iEENS8_INS9_ISB_SC_Lm4ESE_iEESI_SC_Lm5ESE_iEESJ_iiiiiiiii
    .private_segment_fixed_size: 0
    .sgpr_count:     85
    .sgpr_spill_count: 0
    .symbol:         _ZN2at6native12_GLOBAL__N_143conv_depthwise3d_cuda_backward_input_kernelIN3c104HalfEfLin1ELin1ELin1ELin1ELin1ELin1ELin1ELin1ELin1EEEvN5torch10headeronly6detail27GenericPackedTensorAccessorINS7_14TensorAccessorINS3_8ArrayRefIlEEKT_Lm4ENS6_16DefaultPtrTraitsEiEENS_6detail16IndexBoundsCheckILm5EiEESD_Lm5ESE_iEENS8_INS9_ISB_SC_Lm4ESE_iEESI_SC_Lm5ESE_iEESJ_iiiiiiiii.kd
    .uniform_work_group_size: 1
    .uses_dynamic_stack: false
    .vgpr_count:     34
    .vgpr_spill_count: 0
    .wavefront_size: 64
  - .args:
      - .offset:         0
        .size:           48
        .value_kind:     by_value
      - .offset:         48
        .size:           48
        .value_kind:     by_value
      - .offset:         96
        .size:           48
        .value_kind:     by_value
      - .offset:         144
        .size:           4
        .value_kind:     by_value
      - .offset:         148
        .size:           4
        .value_kind:     by_value
      - .offset:         152
        .size:           4
        .value_kind:     by_value
      - .offset:         156
        .size:           4
        .value_kind:     by_value
      - .offset:         160
        .size:           4
        .value_kind:     by_value
      - .offset:         164
        .size:           4
        .value_kind:     by_value
      - .offset:         168
        .size:           4
        .value_kind:     by_value
      - .offset:         172
        .size:           4
        .value_kind:     by_value
      - .offset:         176
        .size:           4
        .value_kind:     by_value
      - .offset:         184
        .size:           4
        .value_kind:     hidden_block_count_x
      - .offset:         188
        .size:           4
        .value_kind:     hidden_block_count_y
      - .offset:         192
        .size:           4
        .value_kind:     hidden_block_count_z
      - .offset:         196
        .size:           2
        .value_kind:     hidden_group_size_x
      - .offset:         198
        .size:           2
        .value_kind:     hidden_group_size_y
      - .offset:         200
        .size:           2
        .value_kind:     hidden_group_size_z
      - .offset:         202
        .size:           2
        .value_kind:     hidden_remainder_x
      - .offset:         204
        .size:           2
        .value_kind:     hidden_remainder_y
      - .offset:         206
        .size:           2
        .value_kind:     hidden_remainder_z
      - .offset:         224
        .size:           8
        .value_kind:     hidden_global_offset_x
      - .offset:         232
        .size:           8
        .value_kind:     hidden_global_offset_y
      - .offset:         240
        .size:           8
        .value_kind:     hidden_global_offset_z
      - .offset:         248
        .size:           2
        .value_kind:     hidden_grid_dims
    .group_segment_fixed_size: 0
    .kernarg_segment_align: 8
    .kernarg_segment_size: 440
    .language:       OpenCL C
    .language_version:
      - 2
      - 0
    .max_flat_workgroup_size: 1024
    .name:           _ZN2at6native12_GLOBAL__N_143conv_depthwise3d_cuda_backward_input_kernelIN3c108BFloat16EfLi3ELi3ELi3ELi1ELi1ELi1ELi1ELi1ELi1EEEvN5torch10headeronly6detail27GenericPackedTensorAccessorINS7_14TensorAccessorINS3_8ArrayRefIlEEKT_Lm4ENS6_16DefaultPtrTraitsEiEENS_6detail16IndexBoundsCheckILm5EiEESD_Lm5ESE_iEENS8_INS9_ISB_SC_Lm4ESE_iEESI_SC_Lm5ESE_iEESJ_iiiiiiiii
    .private_segment_fixed_size: 276
    .sgpr_count:     104
    .sgpr_spill_count: 13
    .symbol:         _ZN2at6native12_GLOBAL__N_143conv_depthwise3d_cuda_backward_input_kernelIN3c108BFloat16EfLi3ELi3ELi3ELi1ELi1ELi1ELi1ELi1ELi1EEEvN5torch10headeronly6detail27GenericPackedTensorAccessorINS7_14TensorAccessorINS3_8ArrayRefIlEEKT_Lm4ENS6_16DefaultPtrTraitsEiEENS_6detail16IndexBoundsCheckILm5EiEESD_Lm5ESE_iEENS8_INS9_ISB_SC_Lm4ESE_iEESI_SC_Lm5ESE_iEESJ_iiiiiiiii.kd
    .uniform_work_group_size: 1
    .uses_dynamic_stack: false
    .vgpr_count:     64
    .vgpr_spill_count: 68
    .wavefront_size: 64
  - .args:
      - .offset:         0
        .size:           48
        .value_kind:     by_value
      - .offset:         48
        .size:           48
        .value_kind:     by_value
      - .offset:         96
        .size:           48
        .value_kind:     by_value
      - .offset:         144
        .size:           4
        .value_kind:     by_value
      - .offset:         148
        .size:           4
        .value_kind:     by_value
      - .offset:         152
        .size:           4
        .value_kind:     by_value
      - .offset:         156
        .size:           4
        .value_kind:     by_value
      - .offset:         160
        .size:           4
        .value_kind:     by_value
      - .offset:         164
        .size:           4
        .value_kind:     by_value
      - .offset:         168
        .size:           4
        .value_kind:     by_value
      - .offset:         172
        .size:           4
        .value_kind:     by_value
      - .offset:         176
        .size:           4
        .value_kind:     by_value
      - .offset:         184
        .size:           4
        .value_kind:     hidden_block_count_x
      - .offset:         188
        .size:           4
        .value_kind:     hidden_block_count_y
      - .offset:         192
        .size:           4
        .value_kind:     hidden_block_count_z
      - .offset:         196
        .size:           2
        .value_kind:     hidden_group_size_x
      - .offset:         198
        .size:           2
        .value_kind:     hidden_group_size_y
      - .offset:         200
        .size:           2
        .value_kind:     hidden_group_size_z
      - .offset:         202
        .size:           2
        .value_kind:     hidden_remainder_x
      - .offset:         204
        .size:           2
        .value_kind:     hidden_remainder_y
      - .offset:         206
        .size:           2
        .value_kind:     hidden_remainder_z
      - .offset:         224
        .size:           8
        .value_kind:     hidden_global_offset_x
      - .offset:         232
        .size:           8
        .value_kind:     hidden_global_offset_y
      - .offset:         240
        .size:           8
        .value_kind:     hidden_global_offset_z
      - .offset:         248
        .size:           2
        .value_kind:     hidden_grid_dims
    .group_segment_fixed_size: 0
    .kernarg_segment_align: 8
    .kernarg_segment_size: 440
    .language:       OpenCL C
    .language_version:
      - 2
      - 0
    .max_flat_workgroup_size: 1024
    .name:           _ZN2at6native12_GLOBAL__N_143conv_depthwise3d_cuda_backward_input_kernelIN3c108BFloat16EfLi3ELi3ELi3ELi1ELi1ELi1ELin1ELin1ELin1EEEvN5torch10headeronly6detail27GenericPackedTensorAccessorINS7_14TensorAccessorINS3_8ArrayRefIlEEKT_Lm4ENS6_16DefaultPtrTraitsEiEENS_6detail16IndexBoundsCheckILm5EiEESD_Lm5ESE_iEENS8_INS9_ISB_SC_Lm4ESE_iEESI_SC_Lm5ESE_iEESJ_iiiiiiiii
    .private_segment_fixed_size: 288
    .sgpr_count:     104
    .sgpr_spill_count: 68
    .symbol:         _ZN2at6native12_GLOBAL__N_143conv_depthwise3d_cuda_backward_input_kernelIN3c108BFloat16EfLi3ELi3ELi3ELi1ELi1ELi1ELin1ELin1ELin1EEEvN5torch10headeronly6detail27GenericPackedTensorAccessorINS7_14TensorAccessorINS3_8ArrayRefIlEEKT_Lm4ENS6_16DefaultPtrTraitsEiEENS_6detail16IndexBoundsCheckILm5EiEESD_Lm5ESE_iEENS8_INS9_ISB_SC_Lm4ESE_iEESI_SC_Lm5ESE_iEESJ_iiiiiiiii.kd
    .uniform_work_group_size: 1
    .uses_dynamic_stack: false
    .vgpr_count:     64
    .vgpr_spill_count: 71
    .wavefront_size: 64
  - .args:
      - .offset:         0
        .size:           48
        .value_kind:     by_value
      - .offset:         48
        .size:           48
        .value_kind:     by_value
      - .offset:         96
        .size:           48
        .value_kind:     by_value
      - .offset:         144
        .size:           4
        .value_kind:     by_value
      - .offset:         148
        .size:           4
        .value_kind:     by_value
      - .offset:         152
        .size:           4
        .value_kind:     by_value
      - .offset:         156
        .size:           4
        .value_kind:     by_value
      - .offset:         160
        .size:           4
        .value_kind:     by_value
      - .offset:         164
        .size:           4
        .value_kind:     by_value
      - .offset:         168
        .size:           4
        .value_kind:     by_value
      - .offset:         172
        .size:           4
        .value_kind:     by_value
      - .offset:         176
        .size:           4
        .value_kind:     by_value
      - .offset:         184
        .size:           4
        .value_kind:     hidden_block_count_x
      - .offset:         188
        .size:           4
        .value_kind:     hidden_block_count_y
      - .offset:         192
        .size:           4
        .value_kind:     hidden_block_count_z
      - .offset:         196
        .size:           2
        .value_kind:     hidden_group_size_x
      - .offset:         198
        .size:           2
        .value_kind:     hidden_group_size_y
      - .offset:         200
        .size:           2
        .value_kind:     hidden_group_size_z
      - .offset:         202
        .size:           2
        .value_kind:     hidden_remainder_x
      - .offset:         204
        .size:           2
        .value_kind:     hidden_remainder_y
      - .offset:         206
        .size:           2
        .value_kind:     hidden_remainder_z
      - .offset:         224
        .size:           8
        .value_kind:     hidden_global_offset_x
      - .offset:         232
        .size:           8
        .value_kind:     hidden_global_offset_y
      - .offset:         240
        .size:           8
        .value_kind:     hidden_global_offset_z
      - .offset:         248
        .size:           2
        .value_kind:     hidden_grid_dims
    .group_segment_fixed_size: 0
    .kernarg_segment_align: 8
    .kernarg_segment_size: 440
    .language:       OpenCL C
    .language_version:
      - 2
      - 0
    .max_flat_workgroup_size: 1024
    .name:           _ZN2at6native12_GLOBAL__N_143conv_depthwise3d_cuda_backward_input_kernelIN3c108BFloat16EfLi3ELi3ELi3ELin1ELin1ELin1ELi1ELi1ELi1EEEvN5torch10headeronly6detail27GenericPackedTensorAccessorINS7_14TensorAccessorINS3_8ArrayRefIlEEKT_Lm4ENS6_16DefaultPtrTraitsEiEENS_6detail16IndexBoundsCheckILm5EiEESD_Lm5ESE_iEENS8_INS9_ISB_SC_Lm4ESE_iEESI_SC_Lm5ESE_iEESJ_iiiiiiiii
    .private_segment_fixed_size: 276
    .sgpr_count:     104
    .sgpr_spill_count: 17
    .symbol:         _ZN2at6native12_GLOBAL__N_143conv_depthwise3d_cuda_backward_input_kernelIN3c108BFloat16EfLi3ELi3ELi3ELin1ELin1ELin1ELi1ELi1ELi1EEEvN5torch10headeronly6detail27GenericPackedTensorAccessorINS7_14TensorAccessorINS3_8ArrayRefIlEEKT_Lm4ENS6_16DefaultPtrTraitsEiEENS_6detail16IndexBoundsCheckILm5EiEESD_Lm5ESE_iEENS8_INS9_ISB_SC_Lm4ESE_iEESI_SC_Lm5ESE_iEESJ_iiiiiiiii.kd
    .uniform_work_group_size: 1
    .uses_dynamic_stack: false
    .vgpr_count:     64
    .vgpr_spill_count: 68
    .wavefront_size: 64
  - .args:
      - .offset:         0
        .size:           48
        .value_kind:     by_value
      - .offset:         48
        .size:           48
        .value_kind:     by_value
      - .offset:         96
        .size:           48
        .value_kind:     by_value
      - .offset:         144
        .size:           4
        .value_kind:     by_value
      - .offset:         148
        .size:           4
        .value_kind:     by_value
      - .offset:         152
        .size:           4
        .value_kind:     by_value
      - .offset:         156
        .size:           4
        .value_kind:     by_value
      - .offset:         160
        .size:           4
        .value_kind:     by_value
      - .offset:         164
        .size:           4
        .value_kind:     by_value
      - .offset:         168
        .size:           4
        .value_kind:     by_value
      - .offset:         172
        .size:           4
        .value_kind:     by_value
      - .offset:         176
        .size:           4
        .value_kind:     by_value
      - .offset:         184
        .size:           4
        .value_kind:     hidden_block_count_x
      - .offset:         188
        .size:           4
        .value_kind:     hidden_block_count_y
      - .offset:         192
        .size:           4
        .value_kind:     hidden_block_count_z
      - .offset:         196
        .size:           2
        .value_kind:     hidden_group_size_x
      - .offset:         198
        .size:           2
        .value_kind:     hidden_group_size_y
      - .offset:         200
        .size:           2
        .value_kind:     hidden_group_size_z
      - .offset:         202
        .size:           2
        .value_kind:     hidden_remainder_x
      - .offset:         204
        .size:           2
        .value_kind:     hidden_remainder_y
      - .offset:         206
        .size:           2
        .value_kind:     hidden_remainder_z
      - .offset:         224
        .size:           8
        .value_kind:     hidden_global_offset_x
      - .offset:         232
        .size:           8
        .value_kind:     hidden_global_offset_y
      - .offset:         240
        .size:           8
        .value_kind:     hidden_global_offset_z
      - .offset:         248
        .size:           2
        .value_kind:     hidden_grid_dims
    .group_segment_fixed_size: 0
    .kernarg_segment_align: 8
    .kernarg_segment_size: 440
    .language:       OpenCL C
    .language_version:
      - 2
      - 0
    .max_flat_workgroup_size: 1024
    .name:           _ZN2at6native12_GLOBAL__N_143conv_depthwise3d_cuda_backward_input_kernelIN3c108BFloat16EfLi3ELi3ELi3ELin1ELin1ELin1ELin1ELin1ELin1EEEvN5torch10headeronly6detail27GenericPackedTensorAccessorINS7_14TensorAccessorINS3_8ArrayRefIlEEKT_Lm4ENS6_16DefaultPtrTraitsEiEENS_6detail16IndexBoundsCheckILm5EiEESD_Lm5ESE_iEENS8_INS9_ISB_SC_Lm4ESE_iEESI_SC_Lm5ESE_iEESJ_iiiiiiiii
    .private_segment_fixed_size: 292
    .sgpr_count:     104
    .sgpr_spill_count: 74
    .symbol:         _ZN2at6native12_GLOBAL__N_143conv_depthwise3d_cuda_backward_input_kernelIN3c108BFloat16EfLi3ELi3ELi3ELin1ELin1ELin1ELin1ELin1ELin1EEEvN5torch10headeronly6detail27GenericPackedTensorAccessorINS7_14TensorAccessorINS3_8ArrayRefIlEEKT_Lm4ENS6_16DefaultPtrTraitsEiEENS_6detail16IndexBoundsCheckILm5EiEESD_Lm5ESE_iEENS8_INS9_ISB_SC_Lm4ESE_iEESI_SC_Lm5ESE_iEESJ_iiiiiiiii.kd
    .uniform_work_group_size: 1
    .uses_dynamic_stack: false
    .vgpr_count:     64
    .vgpr_spill_count: 72
    .wavefront_size: 64
  - .args:
      - .offset:         0
        .size:           48
        .value_kind:     by_value
      - .offset:         48
        .size:           48
        .value_kind:     by_value
      - .offset:         96
        .size:           48
        .value_kind:     by_value
      - .offset:         144
        .size:           4
        .value_kind:     by_value
      - .offset:         148
        .size:           4
        .value_kind:     by_value
      - .offset:         152
        .size:           4
        .value_kind:     by_value
      - .offset:         156
        .size:           4
        .value_kind:     by_value
      - .offset:         160
        .size:           4
        .value_kind:     by_value
      - .offset:         164
        .size:           4
        .value_kind:     by_value
      - .offset:         168
        .size:           4
        .value_kind:     by_value
      - .offset:         172
        .size:           4
        .value_kind:     by_value
      - .offset:         176
        .size:           4
        .value_kind:     by_value
      - .offset:         184
        .size:           4
        .value_kind:     hidden_block_count_x
      - .offset:         188
        .size:           4
        .value_kind:     hidden_block_count_y
      - .offset:         192
        .size:           4
        .value_kind:     hidden_block_count_z
      - .offset:         196
        .size:           2
        .value_kind:     hidden_group_size_x
      - .offset:         198
        .size:           2
        .value_kind:     hidden_group_size_y
      - .offset:         200
        .size:           2
        .value_kind:     hidden_group_size_z
      - .offset:         202
        .size:           2
        .value_kind:     hidden_remainder_x
      - .offset:         204
        .size:           2
        .value_kind:     hidden_remainder_y
      - .offset:         206
        .size:           2
        .value_kind:     hidden_remainder_z
      - .offset:         224
        .size:           8
        .value_kind:     hidden_global_offset_x
      - .offset:         232
        .size:           8
        .value_kind:     hidden_global_offset_y
      - .offset:         240
        .size:           8
        .value_kind:     hidden_global_offset_z
      - .offset:         248
        .size:           2
        .value_kind:     hidden_grid_dims
    .group_segment_fixed_size: 0
    .kernarg_segment_align: 8
    .kernarg_segment_size: 440
    .language:       OpenCL C
    .language_version:
      - 2
      - 0
    .max_flat_workgroup_size: 1024
    .name:           _ZN2at6native12_GLOBAL__N_143conv_depthwise3d_cuda_backward_input_kernelIN3c108BFloat16EfLin1ELin1ELin1ELin1ELin1ELin1ELin1ELin1ELin1EEEvN5torch10headeronly6detail27GenericPackedTensorAccessorINS7_14TensorAccessorINS3_8ArrayRefIlEEKT_Lm4ENS6_16DefaultPtrTraitsEiEENS_6detail16IndexBoundsCheckILm5EiEESD_Lm5ESE_iEENS8_INS9_ISB_SC_Lm4ESE_iEESI_SC_Lm5ESE_iEESJ_iiiiiiiii
    .private_segment_fixed_size: 0
    .sgpr_count:     86
    .sgpr_spill_count: 0
    .symbol:         _ZN2at6native12_GLOBAL__N_143conv_depthwise3d_cuda_backward_input_kernelIN3c108BFloat16EfLin1ELin1ELin1ELin1ELin1ELin1ELin1ELin1ELin1EEEvN5torch10headeronly6detail27GenericPackedTensorAccessorINS7_14TensorAccessorINS3_8ArrayRefIlEEKT_Lm4ENS6_16DefaultPtrTraitsEiEENS_6detail16IndexBoundsCheckILm5EiEESD_Lm5ESE_iEENS8_INS9_ISB_SC_Lm4ESE_iEESI_SC_Lm5ESE_iEESJ_iiiiiiiii.kd
    .uniform_work_group_size: 1
    .uses_dynamic_stack: false
    .vgpr_count:     35
    .vgpr_spill_count: 0
    .wavefront_size: 64
  - .args:
      - .offset:         0
        .size:           48
        .value_kind:     by_value
      - .offset:         48
        .size:           48
        .value_kind:     by_value
      - .offset:         96
        .size:           48
        .value_kind:     by_value
      - .offset:         144
        .size:           4
        .value_kind:     by_value
      - .offset:         148
        .size:           4
        .value_kind:     by_value
      - .offset:         152
        .size:           4
        .value_kind:     by_value
      - .offset:         156
        .size:           4
        .value_kind:     by_value
      - .offset:         160
        .size:           4
        .value_kind:     by_value
      - .offset:         164
        .size:           4
        .value_kind:     by_value
      - .offset:         168
        .size:           4
        .value_kind:     by_value
      - .offset:         172
        .size:           4
        .value_kind:     by_value
      - .offset:         176
        .size:           4
        .value_kind:     by_value
      - .offset:         184
        .size:           4
        .value_kind:     hidden_block_count_x
      - .offset:         188
        .size:           4
        .value_kind:     hidden_block_count_y
      - .offset:         192
        .size:           4
        .value_kind:     hidden_block_count_z
      - .offset:         196
        .size:           2
        .value_kind:     hidden_group_size_x
      - .offset:         198
        .size:           2
        .value_kind:     hidden_group_size_y
      - .offset:         200
        .size:           2
        .value_kind:     hidden_group_size_z
      - .offset:         202
        .size:           2
        .value_kind:     hidden_remainder_x
      - .offset:         204
        .size:           2
        .value_kind:     hidden_remainder_y
      - .offset:         206
        .size:           2
        .value_kind:     hidden_remainder_z
      - .offset:         224
        .size:           8
        .value_kind:     hidden_global_offset_x
      - .offset:         232
        .size:           8
        .value_kind:     hidden_global_offset_y
      - .offset:         240
        .size:           8
        .value_kind:     hidden_global_offset_z
      - .offset:         248
        .size:           2
        .value_kind:     hidden_grid_dims
      - .offset:         304
        .size:           4
        .value_kind:     hidden_dynamic_lds_size
    .group_segment_fixed_size: 0
    .kernarg_segment_align: 8
    .kernarg_segment_size: 440
    .language:       OpenCL C
    .language_version:
      - 2
      - 0
    .max_flat_workgroup_size: 1024
    .name:           _ZN2at6native12_GLOBAL__N_144conv_depthwise3d_cuda_backward_weight_kernelIddLi1ELi1EEEvN5torch10headeronly6detail27GenericPackedTensorAccessorINS5_14TensorAccessorIN3c108ArrayRefIlEEKT_Lm4ENS4_16DefaultPtrTraitsEiEENS_6detail16IndexBoundsCheckILm5EiEESC_Lm5ESD_iEESI_NS6_INS7_ISA_SB_Lm4ESD_iEESH_SB_Lm5ESD_iEEiiiiiiiii
    .private_segment_fixed_size: 0
    .sgpr_count:     54
    .sgpr_spill_count: 0
    .symbol:         _ZN2at6native12_GLOBAL__N_144conv_depthwise3d_cuda_backward_weight_kernelIddLi1ELi1EEEvN5torch10headeronly6detail27GenericPackedTensorAccessorINS5_14TensorAccessorIN3c108ArrayRefIlEEKT_Lm4ENS4_16DefaultPtrTraitsEiEENS_6detail16IndexBoundsCheckILm5EiEESC_Lm5ESD_iEESI_NS6_INS7_ISA_SB_Lm4ESD_iEESH_SB_Lm5ESD_iEEiiiiiiiii.kd
    .uniform_work_group_size: 1
    .uses_dynamic_stack: false
    .vgpr_count:     22
    .vgpr_spill_count: 0
    .wavefront_size: 64
  - .args:
      - .offset:         0
        .size:           48
        .value_kind:     by_value
      - .offset:         48
        .size:           48
        .value_kind:     by_value
      - .offset:         96
        .size:           48
        .value_kind:     by_value
      - .offset:         144
        .size:           4
        .value_kind:     by_value
      - .offset:         148
        .size:           4
        .value_kind:     by_value
      - .offset:         152
        .size:           4
        .value_kind:     by_value
      - .offset:         156
        .size:           4
        .value_kind:     by_value
      - .offset:         160
        .size:           4
        .value_kind:     by_value
      - .offset:         164
        .size:           4
        .value_kind:     by_value
      - .offset:         168
        .size:           4
        .value_kind:     by_value
      - .offset:         172
        .size:           4
        .value_kind:     by_value
      - .offset:         176
        .size:           4
        .value_kind:     by_value
      - .offset:         184
        .size:           4
        .value_kind:     hidden_block_count_x
      - .offset:         188
        .size:           4
        .value_kind:     hidden_block_count_y
      - .offset:         192
        .size:           4
        .value_kind:     hidden_block_count_z
      - .offset:         196
        .size:           2
        .value_kind:     hidden_group_size_x
      - .offset:         198
        .size:           2
        .value_kind:     hidden_group_size_y
      - .offset:         200
        .size:           2
        .value_kind:     hidden_group_size_z
      - .offset:         202
        .size:           2
        .value_kind:     hidden_remainder_x
      - .offset:         204
        .size:           2
        .value_kind:     hidden_remainder_y
      - .offset:         206
        .size:           2
        .value_kind:     hidden_remainder_z
      - .offset:         224
        .size:           8
        .value_kind:     hidden_global_offset_x
      - .offset:         232
        .size:           8
        .value_kind:     hidden_global_offset_y
      - .offset:         240
        .size:           8
        .value_kind:     hidden_global_offset_z
      - .offset:         248
        .size:           2
        .value_kind:     hidden_grid_dims
      - .offset:         304
        .size:           4
        .value_kind:     hidden_dynamic_lds_size
    .group_segment_fixed_size: 0
    .kernarg_segment_align: 8
    .kernarg_segment_size: 440
    .language:       OpenCL C
    .language_version:
      - 2
      - 0
    .max_flat_workgroup_size: 1024
    .name:           _ZN2at6native12_GLOBAL__N_144conv_depthwise3d_cuda_backward_weight_kernelIddLi2ELi2EEEvN5torch10headeronly6detail27GenericPackedTensorAccessorINS5_14TensorAccessorIN3c108ArrayRefIlEEKT_Lm4ENS4_16DefaultPtrTraitsEiEENS_6detail16IndexBoundsCheckILm5EiEESC_Lm5ESD_iEESI_NS6_INS7_ISA_SB_Lm4ESD_iEESH_SB_Lm5ESD_iEEiiiiiiiii
    .private_segment_fixed_size: 0
    .sgpr_count:     54
    .sgpr_spill_count: 0
    .symbol:         _ZN2at6native12_GLOBAL__N_144conv_depthwise3d_cuda_backward_weight_kernelIddLi2ELi2EEEvN5torch10headeronly6detail27GenericPackedTensorAccessorINS5_14TensorAccessorIN3c108ArrayRefIlEEKT_Lm4ENS4_16DefaultPtrTraitsEiEENS_6detail16IndexBoundsCheckILm5EiEESC_Lm5ESD_iEESI_NS6_INS7_ISA_SB_Lm4ESD_iEESH_SB_Lm5ESD_iEEiiiiiiiii.kd
    .uniform_work_group_size: 1
    .uses_dynamic_stack: false
    .vgpr_count:     22
    .vgpr_spill_count: 0
    .wavefront_size: 64
  - .args:
      - .offset:         0
        .size:           48
        .value_kind:     by_value
      - .offset:         48
        .size:           48
        .value_kind:     by_value
      - .offset:         96
        .size:           48
        .value_kind:     by_value
      - .offset:         144
        .size:           4
        .value_kind:     by_value
      - .offset:         148
        .size:           4
        .value_kind:     by_value
      - .offset:         152
        .size:           4
        .value_kind:     by_value
      - .offset:         156
        .size:           4
        .value_kind:     by_value
      - .offset:         160
        .size:           4
        .value_kind:     by_value
      - .offset:         164
        .size:           4
        .value_kind:     by_value
      - .offset:         168
        .size:           4
        .value_kind:     by_value
      - .offset:         172
        .size:           4
        .value_kind:     by_value
      - .offset:         176
        .size:           4
        .value_kind:     by_value
      - .offset:         184
        .size:           4
        .value_kind:     hidden_block_count_x
      - .offset:         188
        .size:           4
        .value_kind:     hidden_block_count_y
      - .offset:         192
        .size:           4
        .value_kind:     hidden_block_count_z
      - .offset:         196
        .size:           2
        .value_kind:     hidden_group_size_x
      - .offset:         198
        .size:           2
        .value_kind:     hidden_group_size_y
      - .offset:         200
        .size:           2
        .value_kind:     hidden_group_size_z
      - .offset:         202
        .size:           2
        .value_kind:     hidden_remainder_x
      - .offset:         204
        .size:           2
        .value_kind:     hidden_remainder_y
      - .offset:         206
        .size:           2
        .value_kind:     hidden_remainder_z
      - .offset:         224
        .size:           8
        .value_kind:     hidden_global_offset_x
      - .offset:         232
        .size:           8
        .value_kind:     hidden_global_offset_y
      - .offset:         240
        .size:           8
        .value_kind:     hidden_global_offset_z
      - .offset:         248
        .size:           2
        .value_kind:     hidden_grid_dims
      - .offset:         304
        .size:           4
        .value_kind:     hidden_dynamic_lds_size
    .group_segment_fixed_size: 0
    .kernarg_segment_align: 8
    .kernarg_segment_size: 440
    .language:       OpenCL C
    .language_version:
      - 2
      - 0
    .max_flat_workgroup_size: 1024
    .name:           _ZN2at6native12_GLOBAL__N_144conv_depthwise3d_cuda_backward_weight_kernelIddLin1ELin1EEEvN5torch10headeronly6detail27GenericPackedTensorAccessorINS5_14TensorAccessorIN3c108ArrayRefIlEEKT_Lm4ENS4_16DefaultPtrTraitsEiEENS_6detail16IndexBoundsCheckILm5EiEESC_Lm5ESD_iEESI_NS6_INS7_ISA_SB_Lm4ESD_iEESH_SB_Lm5ESD_iEEiiiiiiiii
    .private_segment_fixed_size: 0
    .sgpr_count:     56
    .sgpr_spill_count: 0
    .symbol:         _ZN2at6native12_GLOBAL__N_144conv_depthwise3d_cuda_backward_weight_kernelIddLin1ELin1EEEvN5torch10headeronly6detail27GenericPackedTensorAccessorINS5_14TensorAccessorIN3c108ArrayRefIlEEKT_Lm4ENS4_16DefaultPtrTraitsEiEENS_6detail16IndexBoundsCheckILm5EiEESC_Lm5ESD_iEESI_NS6_INS7_ISA_SB_Lm4ESD_iEESH_SB_Lm5ESD_iEEiiiiiiiii.kd
    .uniform_work_group_size: 1
    .uses_dynamic_stack: false
    .vgpr_count:     22
    .vgpr_spill_count: 0
    .wavefront_size: 64
  - .args:
      - .offset:         0
        .size:           48
        .value_kind:     by_value
      - .offset:         48
        .size:           48
        .value_kind:     by_value
      - .offset:         96
        .size:           48
        .value_kind:     by_value
      - .offset:         144
        .size:           4
        .value_kind:     by_value
      - .offset:         148
        .size:           4
        .value_kind:     by_value
      - .offset:         152
        .size:           4
        .value_kind:     by_value
      - .offset:         156
        .size:           4
        .value_kind:     by_value
      - .offset:         160
        .size:           4
        .value_kind:     by_value
      - .offset:         164
        .size:           4
        .value_kind:     by_value
      - .offset:         168
        .size:           4
        .value_kind:     by_value
      - .offset:         172
        .size:           4
        .value_kind:     by_value
      - .offset:         176
        .size:           4
        .value_kind:     by_value
      - .offset:         184
        .size:           4
        .value_kind:     hidden_block_count_x
      - .offset:         188
        .size:           4
        .value_kind:     hidden_block_count_y
      - .offset:         192
        .size:           4
        .value_kind:     hidden_block_count_z
      - .offset:         196
        .size:           2
        .value_kind:     hidden_group_size_x
      - .offset:         198
        .size:           2
        .value_kind:     hidden_group_size_y
      - .offset:         200
        .size:           2
        .value_kind:     hidden_group_size_z
      - .offset:         202
        .size:           2
        .value_kind:     hidden_remainder_x
      - .offset:         204
        .size:           2
        .value_kind:     hidden_remainder_y
      - .offset:         206
        .size:           2
        .value_kind:     hidden_remainder_z
      - .offset:         224
        .size:           8
        .value_kind:     hidden_global_offset_x
      - .offset:         232
        .size:           8
        .value_kind:     hidden_global_offset_y
      - .offset:         240
        .size:           8
        .value_kind:     hidden_global_offset_z
      - .offset:         248
        .size:           2
        .value_kind:     hidden_grid_dims
      - .offset:         304
        .size:           4
        .value_kind:     hidden_dynamic_lds_size
    .group_segment_fixed_size: 0
    .kernarg_segment_align: 8
    .kernarg_segment_size: 440
    .language:       OpenCL C
    .language_version:
      - 2
      - 0
    .max_flat_workgroup_size: 1024
    .name:           _ZN2at6native12_GLOBAL__N_144conv_depthwise3d_cuda_backward_weight_kernelIffLi1ELi1EEEvN5torch10headeronly6detail27GenericPackedTensorAccessorINS5_14TensorAccessorIN3c108ArrayRefIlEEKT_Lm4ENS4_16DefaultPtrTraitsEiEENS_6detail16IndexBoundsCheckILm5EiEESC_Lm5ESD_iEESI_NS6_INS7_ISA_SB_Lm4ESD_iEESH_SB_Lm5ESD_iEEiiiiiiiii
    .private_segment_fixed_size: 0
    .sgpr_count:     54
    .sgpr_spill_count: 0
    .symbol:         _ZN2at6native12_GLOBAL__N_144conv_depthwise3d_cuda_backward_weight_kernelIffLi1ELi1EEEvN5torch10headeronly6detail27GenericPackedTensorAccessorINS5_14TensorAccessorIN3c108ArrayRefIlEEKT_Lm4ENS4_16DefaultPtrTraitsEiEENS_6detail16IndexBoundsCheckILm5EiEESC_Lm5ESD_iEESI_NS6_INS7_ISA_SB_Lm4ESD_iEESH_SB_Lm5ESD_iEEiiiiiiiii.kd
    .uniform_work_group_size: 1
    .uses_dynamic_stack: false
    .vgpr_count:     19
    .vgpr_spill_count: 0
    .wavefront_size: 64
  - .args:
      - .offset:         0
        .size:           48
        .value_kind:     by_value
      - .offset:         48
        .size:           48
        .value_kind:     by_value
      - .offset:         96
        .size:           48
        .value_kind:     by_value
      - .offset:         144
        .size:           4
        .value_kind:     by_value
      - .offset:         148
        .size:           4
        .value_kind:     by_value
      - .offset:         152
        .size:           4
        .value_kind:     by_value
      - .offset:         156
        .size:           4
        .value_kind:     by_value
      - .offset:         160
        .size:           4
        .value_kind:     by_value
      - .offset:         164
        .size:           4
        .value_kind:     by_value
      - .offset:         168
        .size:           4
        .value_kind:     by_value
      - .offset:         172
        .size:           4
        .value_kind:     by_value
      - .offset:         176
        .size:           4
        .value_kind:     by_value
      - .offset:         184
        .size:           4
        .value_kind:     hidden_block_count_x
      - .offset:         188
        .size:           4
        .value_kind:     hidden_block_count_y
      - .offset:         192
        .size:           4
        .value_kind:     hidden_block_count_z
      - .offset:         196
        .size:           2
        .value_kind:     hidden_group_size_x
      - .offset:         198
        .size:           2
        .value_kind:     hidden_group_size_y
      - .offset:         200
        .size:           2
        .value_kind:     hidden_group_size_z
      - .offset:         202
        .size:           2
        .value_kind:     hidden_remainder_x
      - .offset:         204
        .size:           2
        .value_kind:     hidden_remainder_y
      - .offset:         206
        .size:           2
        .value_kind:     hidden_remainder_z
      - .offset:         224
        .size:           8
        .value_kind:     hidden_global_offset_x
      - .offset:         232
        .size:           8
        .value_kind:     hidden_global_offset_y
      - .offset:         240
        .size:           8
        .value_kind:     hidden_global_offset_z
      - .offset:         248
        .size:           2
        .value_kind:     hidden_grid_dims
      - .offset:         304
        .size:           4
        .value_kind:     hidden_dynamic_lds_size
    .group_segment_fixed_size: 0
    .kernarg_segment_align: 8
    .kernarg_segment_size: 440
    .language:       OpenCL C
    .language_version:
      - 2
      - 0
    .max_flat_workgroup_size: 1024
    .name:           _ZN2at6native12_GLOBAL__N_144conv_depthwise3d_cuda_backward_weight_kernelIffLi2ELi2EEEvN5torch10headeronly6detail27GenericPackedTensorAccessorINS5_14TensorAccessorIN3c108ArrayRefIlEEKT_Lm4ENS4_16DefaultPtrTraitsEiEENS_6detail16IndexBoundsCheckILm5EiEESC_Lm5ESD_iEESI_NS6_INS7_ISA_SB_Lm4ESD_iEESH_SB_Lm5ESD_iEEiiiiiiiii
    .private_segment_fixed_size: 0
    .sgpr_count:     54
    .sgpr_spill_count: 0
    .symbol:         _ZN2at6native12_GLOBAL__N_144conv_depthwise3d_cuda_backward_weight_kernelIffLi2ELi2EEEvN5torch10headeronly6detail27GenericPackedTensorAccessorINS5_14TensorAccessorIN3c108ArrayRefIlEEKT_Lm4ENS4_16DefaultPtrTraitsEiEENS_6detail16IndexBoundsCheckILm5EiEESC_Lm5ESD_iEESI_NS6_INS7_ISA_SB_Lm4ESD_iEESH_SB_Lm5ESD_iEEiiiiiiiii.kd
    .uniform_work_group_size: 1
    .uses_dynamic_stack: false
    .vgpr_count:     19
    .vgpr_spill_count: 0
    .wavefront_size: 64
  - .args:
      - .offset:         0
        .size:           48
        .value_kind:     by_value
      - .offset:         48
        .size:           48
        .value_kind:     by_value
      - .offset:         96
        .size:           48
        .value_kind:     by_value
      - .offset:         144
        .size:           4
        .value_kind:     by_value
      - .offset:         148
        .size:           4
        .value_kind:     by_value
      - .offset:         152
        .size:           4
        .value_kind:     by_value
      - .offset:         156
        .size:           4
        .value_kind:     by_value
      - .offset:         160
        .size:           4
        .value_kind:     by_value
      - .offset:         164
        .size:           4
        .value_kind:     by_value
      - .offset:         168
        .size:           4
        .value_kind:     by_value
      - .offset:         172
        .size:           4
        .value_kind:     by_value
      - .offset:         176
        .size:           4
        .value_kind:     by_value
      - .offset:         184
        .size:           4
        .value_kind:     hidden_block_count_x
      - .offset:         188
        .size:           4
        .value_kind:     hidden_block_count_y
      - .offset:         192
        .size:           4
        .value_kind:     hidden_block_count_z
      - .offset:         196
        .size:           2
        .value_kind:     hidden_group_size_x
      - .offset:         198
        .size:           2
        .value_kind:     hidden_group_size_y
      - .offset:         200
        .size:           2
        .value_kind:     hidden_group_size_z
      - .offset:         202
        .size:           2
        .value_kind:     hidden_remainder_x
      - .offset:         204
        .size:           2
        .value_kind:     hidden_remainder_y
      - .offset:         206
        .size:           2
        .value_kind:     hidden_remainder_z
      - .offset:         224
        .size:           8
        .value_kind:     hidden_global_offset_x
      - .offset:         232
        .size:           8
        .value_kind:     hidden_global_offset_y
      - .offset:         240
        .size:           8
        .value_kind:     hidden_global_offset_z
      - .offset:         248
        .size:           2
        .value_kind:     hidden_grid_dims
      - .offset:         304
        .size:           4
        .value_kind:     hidden_dynamic_lds_size
    .group_segment_fixed_size: 0
    .kernarg_segment_align: 8
    .kernarg_segment_size: 440
    .language:       OpenCL C
    .language_version:
      - 2
      - 0
    .max_flat_workgroup_size: 1024
    .name:           _ZN2at6native12_GLOBAL__N_144conv_depthwise3d_cuda_backward_weight_kernelIffLin1ELin1EEEvN5torch10headeronly6detail27GenericPackedTensorAccessorINS5_14TensorAccessorIN3c108ArrayRefIlEEKT_Lm4ENS4_16DefaultPtrTraitsEiEENS_6detail16IndexBoundsCheckILm5EiEESC_Lm5ESD_iEESI_NS6_INS7_ISA_SB_Lm4ESD_iEESH_SB_Lm5ESD_iEEiiiiiiiii
    .private_segment_fixed_size: 0
    .sgpr_count:     56
    .sgpr_spill_count: 0
    .symbol:         _ZN2at6native12_GLOBAL__N_144conv_depthwise3d_cuda_backward_weight_kernelIffLin1ELin1EEEvN5torch10headeronly6detail27GenericPackedTensorAccessorINS5_14TensorAccessorIN3c108ArrayRefIlEEKT_Lm4ENS4_16DefaultPtrTraitsEiEENS_6detail16IndexBoundsCheckILm5EiEESC_Lm5ESD_iEESI_NS6_INS7_ISA_SB_Lm4ESD_iEESH_SB_Lm5ESD_iEEiiiiiiiii.kd
    .uniform_work_group_size: 1
    .uses_dynamic_stack: false
    .vgpr_count:     19
    .vgpr_spill_count: 0
    .wavefront_size: 64
  - .args:
      - .offset:         0
        .size:           48
        .value_kind:     by_value
      - .offset:         48
        .size:           48
        .value_kind:     by_value
      - .offset:         96
        .size:           48
        .value_kind:     by_value
      - .offset:         144
        .size:           4
        .value_kind:     by_value
      - .offset:         148
        .size:           4
        .value_kind:     by_value
      - .offset:         152
        .size:           4
        .value_kind:     by_value
      - .offset:         156
        .size:           4
        .value_kind:     by_value
      - .offset:         160
        .size:           4
        .value_kind:     by_value
      - .offset:         164
        .size:           4
        .value_kind:     by_value
      - .offset:         168
        .size:           4
        .value_kind:     by_value
      - .offset:         172
        .size:           4
        .value_kind:     by_value
      - .offset:         176
        .size:           4
        .value_kind:     by_value
      - .offset:         184
        .size:           4
        .value_kind:     hidden_block_count_x
      - .offset:         188
        .size:           4
        .value_kind:     hidden_block_count_y
      - .offset:         192
        .size:           4
        .value_kind:     hidden_block_count_z
      - .offset:         196
        .size:           2
        .value_kind:     hidden_group_size_x
      - .offset:         198
        .size:           2
        .value_kind:     hidden_group_size_y
      - .offset:         200
        .size:           2
        .value_kind:     hidden_group_size_z
      - .offset:         202
        .size:           2
        .value_kind:     hidden_remainder_x
      - .offset:         204
        .size:           2
        .value_kind:     hidden_remainder_y
      - .offset:         206
        .size:           2
        .value_kind:     hidden_remainder_z
      - .offset:         224
        .size:           8
        .value_kind:     hidden_global_offset_x
      - .offset:         232
        .size:           8
        .value_kind:     hidden_global_offset_y
      - .offset:         240
        .size:           8
        .value_kind:     hidden_global_offset_z
      - .offset:         248
        .size:           2
        .value_kind:     hidden_grid_dims
      - .offset:         304
        .size:           4
        .value_kind:     hidden_dynamic_lds_size
    .group_segment_fixed_size: 0
    .kernarg_segment_align: 8
    .kernarg_segment_size: 440
    .language:       OpenCL C
    .language_version:
      - 2
      - 0
    .max_flat_workgroup_size: 1024
    .name:           _ZN2at6native12_GLOBAL__N_144conv_depthwise3d_cuda_backward_weight_kernelIN3c104HalfEfLi1ELi1EEEvN5torch10headeronly6detail27GenericPackedTensorAccessorINS7_14TensorAccessorINS3_8ArrayRefIlEEKT_Lm4ENS6_16DefaultPtrTraitsEiEENS_6detail16IndexBoundsCheckILm5EiEESD_Lm5ESE_iEESJ_NS8_INS9_ISB_SC_Lm4ESE_iEESI_SC_Lm5ESE_iEEiiiiiiiii
    .private_segment_fixed_size: 0
    .sgpr_count:     54
    .sgpr_spill_count: 0
    .symbol:         _ZN2at6native12_GLOBAL__N_144conv_depthwise3d_cuda_backward_weight_kernelIN3c104HalfEfLi1ELi1EEEvN5torch10headeronly6detail27GenericPackedTensorAccessorINS7_14TensorAccessorINS3_8ArrayRefIlEEKT_Lm4ENS6_16DefaultPtrTraitsEiEENS_6detail16IndexBoundsCheckILm5EiEESD_Lm5ESE_iEESJ_NS8_INS9_ISB_SC_Lm4ESE_iEESI_SC_Lm5ESE_iEEiiiiiiiii.kd
    .uniform_work_group_size: 1
    .uses_dynamic_stack: false
    .vgpr_count:     19
    .vgpr_spill_count: 0
    .wavefront_size: 64
  - .args:
      - .offset:         0
        .size:           48
        .value_kind:     by_value
      - .offset:         48
        .size:           48
        .value_kind:     by_value
      - .offset:         96
        .size:           48
        .value_kind:     by_value
      - .offset:         144
        .size:           4
        .value_kind:     by_value
      - .offset:         148
        .size:           4
        .value_kind:     by_value
      - .offset:         152
        .size:           4
        .value_kind:     by_value
      - .offset:         156
        .size:           4
        .value_kind:     by_value
      - .offset:         160
        .size:           4
        .value_kind:     by_value
      - .offset:         164
        .size:           4
        .value_kind:     by_value
      - .offset:         168
        .size:           4
        .value_kind:     by_value
      - .offset:         172
        .size:           4
        .value_kind:     by_value
      - .offset:         176
        .size:           4
        .value_kind:     by_value
      - .offset:         184
        .size:           4
        .value_kind:     hidden_block_count_x
      - .offset:         188
        .size:           4
        .value_kind:     hidden_block_count_y
      - .offset:         192
        .size:           4
        .value_kind:     hidden_block_count_z
      - .offset:         196
        .size:           2
        .value_kind:     hidden_group_size_x
      - .offset:         198
        .size:           2
        .value_kind:     hidden_group_size_y
      - .offset:         200
        .size:           2
        .value_kind:     hidden_group_size_z
      - .offset:         202
        .size:           2
        .value_kind:     hidden_remainder_x
      - .offset:         204
        .size:           2
        .value_kind:     hidden_remainder_y
      - .offset:         206
        .size:           2
        .value_kind:     hidden_remainder_z
      - .offset:         224
        .size:           8
        .value_kind:     hidden_global_offset_x
      - .offset:         232
        .size:           8
        .value_kind:     hidden_global_offset_y
      - .offset:         240
        .size:           8
        .value_kind:     hidden_global_offset_z
      - .offset:         248
        .size:           2
        .value_kind:     hidden_grid_dims
      - .offset:         304
        .size:           4
        .value_kind:     hidden_dynamic_lds_size
    .group_segment_fixed_size: 0
    .kernarg_segment_align: 8
    .kernarg_segment_size: 440
    .language:       OpenCL C
    .language_version:
      - 2
      - 0
    .max_flat_workgroup_size: 1024
    .name:           _ZN2at6native12_GLOBAL__N_144conv_depthwise3d_cuda_backward_weight_kernelIN3c104HalfEfLi2ELi2EEEvN5torch10headeronly6detail27GenericPackedTensorAccessorINS7_14TensorAccessorINS3_8ArrayRefIlEEKT_Lm4ENS6_16DefaultPtrTraitsEiEENS_6detail16IndexBoundsCheckILm5EiEESD_Lm5ESE_iEESJ_NS8_INS9_ISB_SC_Lm4ESE_iEESI_SC_Lm5ESE_iEEiiiiiiiii
    .private_segment_fixed_size: 0
    .sgpr_count:     54
    .sgpr_spill_count: 0
    .symbol:         _ZN2at6native12_GLOBAL__N_144conv_depthwise3d_cuda_backward_weight_kernelIN3c104HalfEfLi2ELi2EEEvN5torch10headeronly6detail27GenericPackedTensorAccessorINS7_14TensorAccessorINS3_8ArrayRefIlEEKT_Lm4ENS6_16DefaultPtrTraitsEiEENS_6detail16IndexBoundsCheckILm5EiEESD_Lm5ESE_iEESJ_NS8_INS9_ISB_SC_Lm4ESE_iEESI_SC_Lm5ESE_iEEiiiiiiiii.kd
    .uniform_work_group_size: 1
    .uses_dynamic_stack: false
    .vgpr_count:     19
    .vgpr_spill_count: 0
    .wavefront_size: 64
  - .args:
      - .offset:         0
        .size:           48
        .value_kind:     by_value
      - .offset:         48
        .size:           48
        .value_kind:     by_value
      - .offset:         96
        .size:           48
        .value_kind:     by_value
      - .offset:         144
        .size:           4
        .value_kind:     by_value
      - .offset:         148
        .size:           4
        .value_kind:     by_value
      - .offset:         152
        .size:           4
        .value_kind:     by_value
      - .offset:         156
        .size:           4
        .value_kind:     by_value
      - .offset:         160
        .size:           4
        .value_kind:     by_value
      - .offset:         164
        .size:           4
        .value_kind:     by_value
      - .offset:         168
        .size:           4
        .value_kind:     by_value
      - .offset:         172
        .size:           4
        .value_kind:     by_value
      - .offset:         176
        .size:           4
        .value_kind:     by_value
      - .offset:         184
        .size:           4
        .value_kind:     hidden_block_count_x
      - .offset:         188
        .size:           4
        .value_kind:     hidden_block_count_y
      - .offset:         192
        .size:           4
        .value_kind:     hidden_block_count_z
      - .offset:         196
        .size:           2
        .value_kind:     hidden_group_size_x
      - .offset:         198
        .size:           2
        .value_kind:     hidden_group_size_y
      - .offset:         200
        .size:           2
        .value_kind:     hidden_group_size_z
      - .offset:         202
        .size:           2
        .value_kind:     hidden_remainder_x
      - .offset:         204
        .size:           2
        .value_kind:     hidden_remainder_y
      - .offset:         206
        .size:           2
        .value_kind:     hidden_remainder_z
      - .offset:         224
        .size:           8
        .value_kind:     hidden_global_offset_x
      - .offset:         232
        .size:           8
        .value_kind:     hidden_global_offset_y
      - .offset:         240
        .size:           8
        .value_kind:     hidden_global_offset_z
      - .offset:         248
        .size:           2
        .value_kind:     hidden_grid_dims
      - .offset:         304
        .size:           4
        .value_kind:     hidden_dynamic_lds_size
    .group_segment_fixed_size: 0
    .kernarg_segment_align: 8
    .kernarg_segment_size: 440
    .language:       OpenCL C
    .language_version:
      - 2
      - 0
    .max_flat_workgroup_size: 1024
    .name:           _ZN2at6native12_GLOBAL__N_144conv_depthwise3d_cuda_backward_weight_kernelIN3c104HalfEfLin1ELin1EEEvN5torch10headeronly6detail27GenericPackedTensorAccessorINS7_14TensorAccessorINS3_8ArrayRefIlEEKT_Lm4ENS6_16DefaultPtrTraitsEiEENS_6detail16IndexBoundsCheckILm5EiEESD_Lm5ESE_iEESJ_NS8_INS9_ISB_SC_Lm4ESE_iEESI_SC_Lm5ESE_iEEiiiiiiiii
    .private_segment_fixed_size: 0
    .sgpr_count:     56
    .sgpr_spill_count: 0
    .symbol:         _ZN2at6native12_GLOBAL__N_144conv_depthwise3d_cuda_backward_weight_kernelIN3c104HalfEfLin1ELin1EEEvN5torch10headeronly6detail27GenericPackedTensorAccessorINS7_14TensorAccessorINS3_8ArrayRefIlEEKT_Lm4ENS6_16DefaultPtrTraitsEiEENS_6detail16IndexBoundsCheckILm5EiEESD_Lm5ESE_iEESJ_NS8_INS9_ISB_SC_Lm4ESE_iEESI_SC_Lm5ESE_iEEiiiiiiiii.kd
    .uniform_work_group_size: 1
    .uses_dynamic_stack: false
    .vgpr_count:     19
    .vgpr_spill_count: 0
    .wavefront_size: 64
  - .args:
      - .offset:         0
        .size:           48
        .value_kind:     by_value
      - .offset:         48
        .size:           48
        .value_kind:     by_value
      - .offset:         96
        .size:           48
        .value_kind:     by_value
      - .offset:         144
        .size:           4
        .value_kind:     by_value
      - .offset:         148
        .size:           4
        .value_kind:     by_value
      - .offset:         152
        .size:           4
        .value_kind:     by_value
      - .offset:         156
        .size:           4
        .value_kind:     by_value
      - .offset:         160
        .size:           4
        .value_kind:     by_value
      - .offset:         164
        .size:           4
        .value_kind:     by_value
      - .offset:         168
        .size:           4
        .value_kind:     by_value
      - .offset:         172
        .size:           4
        .value_kind:     by_value
      - .offset:         176
        .size:           4
        .value_kind:     by_value
      - .offset:         184
        .size:           4
        .value_kind:     hidden_block_count_x
      - .offset:         188
        .size:           4
        .value_kind:     hidden_block_count_y
      - .offset:         192
        .size:           4
        .value_kind:     hidden_block_count_z
      - .offset:         196
        .size:           2
        .value_kind:     hidden_group_size_x
      - .offset:         198
        .size:           2
        .value_kind:     hidden_group_size_y
      - .offset:         200
        .size:           2
        .value_kind:     hidden_group_size_z
      - .offset:         202
        .size:           2
        .value_kind:     hidden_remainder_x
      - .offset:         204
        .size:           2
        .value_kind:     hidden_remainder_y
      - .offset:         206
        .size:           2
        .value_kind:     hidden_remainder_z
      - .offset:         224
        .size:           8
        .value_kind:     hidden_global_offset_x
      - .offset:         232
        .size:           8
        .value_kind:     hidden_global_offset_y
      - .offset:         240
        .size:           8
        .value_kind:     hidden_global_offset_z
      - .offset:         248
        .size:           2
        .value_kind:     hidden_grid_dims
      - .offset:         304
        .size:           4
        .value_kind:     hidden_dynamic_lds_size
    .group_segment_fixed_size: 0
    .kernarg_segment_align: 8
    .kernarg_segment_size: 440
    .language:       OpenCL C
    .language_version:
      - 2
      - 0
    .max_flat_workgroup_size: 1024
    .name:           _ZN2at6native12_GLOBAL__N_144conv_depthwise3d_cuda_backward_weight_kernelIN3c108BFloat16EfLi1ELi1EEEvN5torch10headeronly6detail27GenericPackedTensorAccessorINS7_14TensorAccessorINS3_8ArrayRefIlEEKT_Lm4ENS6_16DefaultPtrTraitsEiEENS_6detail16IndexBoundsCheckILm5EiEESD_Lm5ESE_iEESJ_NS8_INS9_ISB_SC_Lm4ESE_iEESI_SC_Lm5ESE_iEEiiiiiiiii
    .private_segment_fixed_size: 0
    .sgpr_count:     54
    .sgpr_spill_count: 0
    .symbol:         _ZN2at6native12_GLOBAL__N_144conv_depthwise3d_cuda_backward_weight_kernelIN3c108BFloat16EfLi1ELi1EEEvN5torch10headeronly6detail27GenericPackedTensorAccessorINS7_14TensorAccessorINS3_8ArrayRefIlEEKT_Lm4ENS6_16DefaultPtrTraitsEiEENS_6detail16IndexBoundsCheckILm5EiEESD_Lm5ESE_iEESJ_NS8_INS9_ISB_SC_Lm4ESE_iEESI_SC_Lm5ESE_iEEiiiiiiiii.kd
    .uniform_work_group_size: 1
    .uses_dynamic_stack: false
    .vgpr_count:     19
    .vgpr_spill_count: 0
    .wavefront_size: 64
  - .args:
      - .offset:         0
        .size:           48
        .value_kind:     by_value
      - .offset:         48
        .size:           48
        .value_kind:     by_value
      - .offset:         96
        .size:           48
        .value_kind:     by_value
      - .offset:         144
        .size:           4
        .value_kind:     by_value
      - .offset:         148
        .size:           4
        .value_kind:     by_value
      - .offset:         152
        .size:           4
        .value_kind:     by_value
      - .offset:         156
        .size:           4
        .value_kind:     by_value
      - .offset:         160
        .size:           4
        .value_kind:     by_value
      - .offset:         164
        .size:           4
        .value_kind:     by_value
      - .offset:         168
        .size:           4
        .value_kind:     by_value
      - .offset:         172
        .size:           4
        .value_kind:     by_value
      - .offset:         176
        .size:           4
        .value_kind:     by_value
      - .offset:         184
        .size:           4
        .value_kind:     hidden_block_count_x
      - .offset:         188
        .size:           4
        .value_kind:     hidden_block_count_y
      - .offset:         192
        .size:           4
        .value_kind:     hidden_block_count_z
      - .offset:         196
        .size:           2
        .value_kind:     hidden_group_size_x
      - .offset:         198
        .size:           2
        .value_kind:     hidden_group_size_y
      - .offset:         200
        .size:           2
        .value_kind:     hidden_group_size_z
      - .offset:         202
        .size:           2
        .value_kind:     hidden_remainder_x
      - .offset:         204
        .size:           2
        .value_kind:     hidden_remainder_y
      - .offset:         206
        .size:           2
        .value_kind:     hidden_remainder_z
      - .offset:         224
        .size:           8
        .value_kind:     hidden_global_offset_x
      - .offset:         232
        .size:           8
        .value_kind:     hidden_global_offset_y
      - .offset:         240
        .size:           8
        .value_kind:     hidden_global_offset_z
      - .offset:         248
        .size:           2
        .value_kind:     hidden_grid_dims
      - .offset:         304
        .size:           4
        .value_kind:     hidden_dynamic_lds_size
    .group_segment_fixed_size: 0
    .kernarg_segment_align: 8
    .kernarg_segment_size: 440
    .language:       OpenCL C
    .language_version:
      - 2
      - 0
    .max_flat_workgroup_size: 1024
    .name:           _ZN2at6native12_GLOBAL__N_144conv_depthwise3d_cuda_backward_weight_kernelIN3c108BFloat16EfLi2ELi2EEEvN5torch10headeronly6detail27GenericPackedTensorAccessorINS7_14TensorAccessorINS3_8ArrayRefIlEEKT_Lm4ENS6_16DefaultPtrTraitsEiEENS_6detail16IndexBoundsCheckILm5EiEESD_Lm5ESE_iEESJ_NS8_INS9_ISB_SC_Lm4ESE_iEESI_SC_Lm5ESE_iEEiiiiiiiii
    .private_segment_fixed_size: 0
    .sgpr_count:     54
    .sgpr_spill_count: 0
    .symbol:         _ZN2at6native12_GLOBAL__N_144conv_depthwise3d_cuda_backward_weight_kernelIN3c108BFloat16EfLi2ELi2EEEvN5torch10headeronly6detail27GenericPackedTensorAccessorINS7_14TensorAccessorINS3_8ArrayRefIlEEKT_Lm4ENS6_16DefaultPtrTraitsEiEENS_6detail16IndexBoundsCheckILm5EiEESD_Lm5ESE_iEESJ_NS8_INS9_ISB_SC_Lm4ESE_iEESI_SC_Lm5ESE_iEEiiiiiiiii.kd
    .uniform_work_group_size: 1
    .uses_dynamic_stack: false
    .vgpr_count:     19
    .vgpr_spill_count: 0
    .wavefront_size: 64
  - .args:
      - .offset:         0
        .size:           48
        .value_kind:     by_value
      - .offset:         48
        .size:           48
        .value_kind:     by_value
      - .offset:         96
        .size:           48
        .value_kind:     by_value
      - .offset:         144
        .size:           4
        .value_kind:     by_value
      - .offset:         148
        .size:           4
        .value_kind:     by_value
      - .offset:         152
        .size:           4
        .value_kind:     by_value
      - .offset:         156
        .size:           4
        .value_kind:     by_value
      - .offset:         160
        .size:           4
        .value_kind:     by_value
      - .offset:         164
        .size:           4
        .value_kind:     by_value
      - .offset:         168
        .size:           4
        .value_kind:     by_value
      - .offset:         172
        .size:           4
        .value_kind:     by_value
      - .offset:         176
        .size:           4
        .value_kind:     by_value
      - .offset:         184
        .size:           4
        .value_kind:     hidden_block_count_x
      - .offset:         188
        .size:           4
        .value_kind:     hidden_block_count_y
      - .offset:         192
        .size:           4
        .value_kind:     hidden_block_count_z
      - .offset:         196
        .size:           2
        .value_kind:     hidden_group_size_x
      - .offset:         198
        .size:           2
        .value_kind:     hidden_group_size_y
      - .offset:         200
        .size:           2
        .value_kind:     hidden_group_size_z
      - .offset:         202
        .size:           2
        .value_kind:     hidden_remainder_x
      - .offset:         204
        .size:           2
        .value_kind:     hidden_remainder_y
      - .offset:         206
        .size:           2
        .value_kind:     hidden_remainder_z
      - .offset:         224
        .size:           8
        .value_kind:     hidden_global_offset_x
      - .offset:         232
        .size:           8
        .value_kind:     hidden_global_offset_y
      - .offset:         240
        .size:           8
        .value_kind:     hidden_global_offset_z
      - .offset:         248
        .size:           2
        .value_kind:     hidden_grid_dims
      - .offset:         304
        .size:           4
        .value_kind:     hidden_dynamic_lds_size
    .group_segment_fixed_size: 0
    .kernarg_segment_align: 8
    .kernarg_segment_size: 440
    .language:       OpenCL C
    .language_version:
      - 2
      - 0
    .max_flat_workgroup_size: 1024
    .name:           _ZN2at6native12_GLOBAL__N_144conv_depthwise3d_cuda_backward_weight_kernelIN3c108BFloat16EfLin1ELin1EEEvN5torch10headeronly6detail27GenericPackedTensorAccessorINS7_14TensorAccessorINS3_8ArrayRefIlEEKT_Lm4ENS6_16DefaultPtrTraitsEiEENS_6detail16IndexBoundsCheckILm5EiEESD_Lm5ESE_iEESJ_NS8_INS9_ISB_SC_Lm4ESE_iEESI_SC_Lm5ESE_iEEiiiiiiiii
    .private_segment_fixed_size: 0
    .sgpr_count:     56
    .sgpr_spill_count: 0
    .symbol:         _ZN2at6native12_GLOBAL__N_144conv_depthwise3d_cuda_backward_weight_kernelIN3c108BFloat16EfLin1ELin1EEEvN5torch10headeronly6detail27GenericPackedTensorAccessorINS7_14TensorAccessorINS3_8ArrayRefIlEEKT_Lm4ENS6_16DefaultPtrTraitsEiEENS_6detail16IndexBoundsCheckILm5EiEESD_Lm5ESE_iEESJ_NS8_INS9_ISB_SC_Lm4ESE_iEESI_SC_Lm5ESE_iEEiiiiiiiii.kd
    .uniform_work_group_size: 1
    .uses_dynamic_stack: false
    .vgpr_count:     19
    .vgpr_spill_count: 0
    .wavefront_size: 64
amdhsa.target:   amdgcn-amd-amdhsa--gfx906
amdhsa.version:
  - 1
  - 2
...

	.end_amdgpu_metadata
